;; amdgpu-corpus repo=ROCm/rocFFT kind=compiled arch=gfx1030 opt=O3
	.text
	.amdgcn_target "amdgcn-amd-amdhsa--gfx1030"
	.amdhsa_code_object_version 6
	.protected	bluestein_single_fwd_len1200_dim1_sp_op_CI_CI ; -- Begin function bluestein_single_fwd_len1200_dim1_sp_op_CI_CI
	.globl	bluestein_single_fwd_len1200_dim1_sp_op_CI_CI
	.p2align	8
	.type	bluestein_single_fwd_len1200_dim1_sp_op_CI_CI,@function
bluestein_single_fwd_len1200_dim1_sp_op_CI_CI: ; @bluestein_single_fwd_len1200_dim1_sp_op_CI_CI
; %bb.0:
	s_load_dwordx4 s[8:11], s[4:5], 0x28
	v_mul_u32_u24_e32 v1, 0x36a, v0
	s_mov_b32 s0, exec_lo
	v_lshrrev_b32_e32 v1, 16, v1
	v_mad_u64_u32 v[142:143], null, s6, 3, v[1:2]
	v_mov_b32_e32 v143, 0
	s_waitcnt lgkmcnt(0)
	v_cmpx_gt_u64_e64 s[8:9], v[142:143]
	s_cbranch_execz .LBB0_31
; %bb.1:
	s_clause 0x1
	s_load_dwordx4 s[0:3], s[4:5], 0x18
	s_load_dwordx2 s[6:7], s[4:5], 0x0
	v_mul_lo_u16 v1, 0x4b, v1
	v_sub_nc_u16 v39, v0, v1
	v_and_b32_e32 v170, 0xffff, v39
	v_lshlrev_b32_e32 v10, 3, v170
	s_waitcnt lgkmcnt(0)
	s_load_dwordx4 s[12:15], s[0:1], 0x0
	s_clause 0x3
	global_load_dwordx2 v[143:144], v10, s[6:7]
	global_load_dwordx2 v[149:150], v10, s[6:7] offset:600
	global_load_dwordx2 v[155:156], v10, s[6:7] offset:1920
	;; [unrolled: 1-line block ×3, first 2 shown]
	v_add_co_u32 v124, s0, s6, v10
	v_add_co_ci_u32_e64 v125, null, s7, 0, s0
	v_add_co_u32 v132, vcc_lo, 0x800, v124
	v_add_co_ci_u32_e32 v133, vcc_lo, 0, v125, vcc_lo
	v_add_co_u32 v130, vcc_lo, 0x1000, v124
	v_add_co_ci_u32_e32 v131, vcc_lo, 0, v125, vcc_lo
	;; [unrolled: 2-line block ×3, first 2 shown]
	s_waitcnt lgkmcnt(0)
	v_mad_u64_u32 v[0:1], null, s14, v142, 0
	v_mad_u64_u32 v[2:3], null, s12, v170, 0
	v_add_co_u32 v126, vcc_lo, 0x2000, v124
	v_add_co_ci_u32_e32 v127, vcc_lo, 0, v125, vcc_lo
	s_mul_i32 s1, s13, 0xf0
	s_mul_hi_u32 s7, s12, 0xf0
	v_mad_u64_u32 v[4:5], null, s15, v142, v[1:2]
	s_mul_i32 s0, s12, 0xf0
	s_mul_hi_u32 s9, s12, 0xfffffc8b
	s_add_i32 s1, s7, s1
	s_mul_i32 s8, s13, 0xfffffc8b
	s_mul_i32 s6, s12, 0xfffffc8b
	s_sub_i32 s7, s9, s12
	v_mad_u64_u32 v[5:6], null, s13, v170, v[3:4]
	v_mov_b32_e32 v1, v4
	s_lshl_b64 s[12:13], s[0:1], 3
	s_clause 0x9
	global_load_dwordx2 v[157:158], v[132:133], off offset:472
	global_load_dwordx2 v[151:152], v[130:131], off offset:344
	;; [unrolled: 1-line block ×10, first 2 shown]
	v_lshlrev_b64 v[0:1], 3, v[0:1]
	v_mov_b32_e32 v3, v5
	s_add_i32 s7, s7, s8
	s_lshl_b64 s[0:1], s[6:7], 3
	v_lshlrev_b64 v[2:3], 3, v[2:3]
	v_add_co_u32 v0, vcc_lo, s10, v0
	v_add_co_ci_u32_e32 v1, vcc_lo, s11, v1, vcc_lo
	v_add_co_u32 v0, vcc_lo, v0, v2
	v_add_co_ci_u32_e32 v1, vcc_lo, v1, v3, vcc_lo
	;; [unrolled: 2-line block ×4, first 2 shown]
	s_clause 0x1
	global_load_dwordx2 v[11:12], v[0:1], off
	global_load_dwordx2 v[2:3], v[2:3], off
	v_add_co_u32 v6, vcc_lo, v4, s12
	v_add_co_ci_u32_e32 v7, vcc_lo, s13, v5, vcc_lo
	v_add_co_u32 v0, vcc_lo, v6, s12
	v_add_co_ci_u32_e32 v1, vcc_lo, s13, v7, vcc_lo
	s_clause 0x1
	global_load_dwordx2 v[4:5], v[4:5], off
	global_load_dwordx2 v[6:7], v[6:7], off
	v_add_co_u32 v8, vcc_lo, v0, s0
	v_add_co_ci_u32_e32 v9, vcc_lo, s1, v1, vcc_lo
	global_load_dwordx2 v[13:14], v[0:1], off
	v_add_co_u32 v0, vcc_lo, v8, s12
	v_add_co_ci_u32_e32 v1, vcc_lo, s13, v9, vcc_lo
	global_load_dwordx2 v[15:16], v[8:9], off
	v_add_co_u32 v8, vcc_lo, v0, s12
	v_add_co_ci_u32_e32 v9, vcc_lo, s13, v1, vcc_lo
	global_load_dwordx2 v[17:18], v[0:1], off
	v_add_co_u32 v0, vcc_lo, v8, s12
	v_add_co_ci_u32_e32 v1, vcc_lo, s13, v9, vcc_lo
	global_load_dwordx2 v[19:20], v[8:9], off
	v_add_co_u32 v8, vcc_lo, v0, s12
	v_add_co_ci_u32_e32 v9, vcc_lo, s13, v1, vcc_lo
	global_load_dwordx2 v[21:22], v[0:1], off
	v_add_co_u32 v0, vcc_lo, v8, s0
	v_add_co_ci_u32_e32 v1, vcc_lo, s1, v9, vcc_lo
	global_load_dwordx2 v[23:24], v[8:9], off
	v_add_co_u32 v8, vcc_lo, v0, s12
	v_add_co_ci_u32_e32 v9, vcc_lo, s13, v1, vcc_lo
	global_load_dwordx2 v[25:26], v[0:1], off
	v_add_co_u32 v0, vcc_lo, v8, s12
	v_add_co_ci_u32_e32 v1, vcc_lo, s13, v9, vcc_lo
	global_load_dwordx2 v[27:28], v[8:9], off
	v_add_co_u32 v8, vcc_lo, v0, s12
	v_add_co_ci_u32_e32 v9, vcc_lo, s13, v1, vcc_lo
	global_load_dwordx2 v[29:30], v[0:1], off
	v_add_co_u32 v0, vcc_lo, v8, s12
	v_add_co_ci_u32_e32 v1, vcc_lo, s13, v9, vcc_lo
	global_load_dwordx2 v[31:32], v[8:9], off
	global_load_dwordx2 v[147:148], v[126:127], off offset:688
	global_load_dwordx2 v[33:34], v[0:1], off
	v_mul_hi_u32 v8, 0xaaaaaaab, v142
	s_load_dwordx2 s[6:7], s[4:5], 0x38
	s_load_dwordx4 s[8:11], s[2:3], 0x0
	v_cmp_gt_u16_e32 vcc_lo, 15, v39
	v_lshrrev_b32_e32 v8, 1, v8
	v_lshl_add_u32 v8, v8, 1, v8
	v_sub_nc_u32_e32 v8, v142, v8
	v_mul_u32_u24_e32 v8, 0x4b0, v8
	v_lshlrev_b32_e32 v171, 3, v8
	v_add_nc_u32_e32 v169, v10, v171
	v_add_nc_u32_e32 v8, 0x800, v169
	;; [unrolled: 1-line block ×4, first 2 shown]
	s_waitcnt vmcnt(15)
	v_mul_f32_e32 v35, v12, v144
	s_waitcnt vmcnt(14)
	v_mul_f32_e32 v37, v3, v156
	v_mul_f32_e32 v36, v2, v156
	;; [unrolled: 1-line block ×3, first 2 shown]
	v_fmac_f32_e32 v35, v11, v143
	v_fmac_f32_e32 v37, v2, v155
	v_fma_f32 v38, v3, v155, -v36
	v_fma_f32 v36, v12, v143, -v40
	s_waitcnt vmcnt(13)
	v_mul_f32_e32 v2, v5, v162
	v_mul_f32_e32 v3, v4, v162
	s_waitcnt vmcnt(12)
	v_mul_f32_e32 v11, v7, v164
	v_mul_f32_e32 v12, v6, v164
	ds_write_b64 v169, v[37:38] offset:1920
	v_fmac_f32_e32 v2, v4, v161
	v_fma_f32 v3, v5, v161, -v3
	s_waitcnt vmcnt(11)
	v_mul_f32_e32 v4, v14, v160
	v_mul_f32_e32 v5, v13, v160
	v_fmac_f32_e32 v11, v6, v163
	v_fma_f32 v12, v7, v163, -v12
	s_waitcnt vmcnt(10)
	v_mul_f32_e32 v6, v16, v150
	v_fmac_f32_e32 v4, v13, v159
	v_fma_f32 v5, v14, v159, -v5
	v_mul_f32_e32 v7, v15, v150
	ds_write_b64 v169, v[2:3] offset:3840
	ds_write_b64 v169, v[11:12] offset:5760
	;; [unrolled: 1-line block ×3, first 2 shown]
	v_fmac_f32_e32 v6, v15, v149
	v_fma_f32 v7, v16, v149, -v7
	s_waitcnt vmcnt(9)
	v_mul_f32_e32 v3, v17, v158
	v_mul_f32_e32 v2, v18, v158
	s_waitcnt vmcnt(8)
	v_mul_f32_e32 v5, v19, v152
	v_mul_f32_e32 v4, v20, v152
	ds_write2_b64 v169, v[35:36], v[6:7] offset1:75
	v_fma_f32 v3, v18, v157, -v3
	s_waitcnt vmcnt(7)
	v_mul_f32_e32 v6, v22, v154
	v_fmac_f32_e32 v2, v17, v157
	v_fma_f32 v5, v20, v151, -v5
	v_mul_f32_e32 v7, v21, v154
	v_fmac_f32_e32 v4, v19, v151
	s_waitcnt vmcnt(6)
	v_mul_f32_e32 v16, v23, v146
	v_fmac_f32_e32 v6, v21, v153
	v_mul_f32_e32 v11, v24, v146
	v_fma_f32 v7, v22, v153, -v7
	s_waitcnt vmcnt(5)
	v_mul_f32_e32 v13, v26, v135
	v_mul_f32_e32 v12, v25, v135
	v_fmac_f32_e32 v11, v23, v145
	v_fmac_f32_e32 v13, v25, v134
	v_fma_f32 v14, v26, v134, -v12
	s_waitcnt vmcnt(4)
	v_mul_f32_e32 v15, v28, v137
	v_mul_f32_e32 v18, v27, v137
	v_fma_f32 v12, v24, v145, -v16
	s_waitcnt vmcnt(3)
	v_mul_f32_e32 v17, v30, v141
	ds_write_b64 v169, v[13:14] offset:1200
	v_mul_f32_e32 v14, v29, v141
	v_fmac_f32_e32 v15, v27, v136
	s_waitcnt vmcnt(2)
	v_mul_f32_e32 v13, v32, v139
	v_mul_f32_e32 v20, v31, v139
	s_waitcnt vmcnt(0)
	v_mul_f32_e32 v19, v34, v148
	v_mul_f32_e32 v21, v33, v148
	v_fma_f32 v16, v28, v136, -v18
	v_fmac_f32_e32 v17, v29, v140
	v_fma_f32 v18, v30, v140, -v14
	v_fmac_f32_e32 v13, v31, v138
	;; [unrolled: 2-line block ×3, first 2 shown]
	v_fma_f32 v20, v34, v147, -v21
	v_add_nc_u32_e32 v21, 0x2000, v169
	ds_write2_b64 v8, v[2:3], v[15:16] offset0:59 offset1:134
	ds_write2_b64 v10, v[4:5], v[17:18] offset0:43 offset1:118
	;; [unrolled: 1-line block ×4, first 2 shown]
	s_and_saveexec_b32 s2, vcc_lo
	s_cbranch_execz .LBB0_3
; %bb.2:
	v_add_co_u32 v0, s0, v0, s0
	v_add_co_ci_u32_e64 v1, s0, s1, v1, s0
	v_add_nc_u32_e32 v27, 0x700, v169
	v_add_co_u32 v2, s0, v0, s12
	v_add_co_ci_u32_e64 v3, s0, s13, v1, s0
	v_add_nc_u32_e32 v28, 0x1600, v169
	v_add_co_u32 v4, s0, v2, s12
	v_add_co_ci_u32_e64 v5, s0, s13, v3, s0
	global_load_dwordx2 v[0:1], v[0:1], off
	global_load_dwordx2 v[6:7], v[124:125], off offset:1800
	global_load_dwordx2 v[2:3], v[2:3], off
	global_load_dwordx2 v[11:12], v[132:133], off offset:1672
	global_load_dwordx2 v[13:14], v[4:5], off
	v_add_co_u32 v4, s0, v4, s12
	v_add_co_ci_u32_e64 v5, s0, s13, v5, s0
	global_load_dwordx2 v[15:16], v[130:131], off offset:1544
	v_add_co_u32 v17, s0, v4, s12
	v_add_co_ci_u32_e64 v18, s0, s13, v5, s0
	global_load_dwordx2 v[4:5], v[4:5], off
	s_clause 0x1
	global_load_dwordx2 v[19:20], v[128:129], off offset:1416
	global_load_dwordx2 v[21:22], v[126:127], off offset:1288
	global_load_dwordx2 v[17:18], v[17:18], off
	s_waitcnt vmcnt(8)
	v_mul_f32_e32 v23, v1, v7
	v_mul_f32_e32 v7, v0, v7
	s_waitcnt vmcnt(6)
	v_mul_f32_e32 v25, v3, v12
	v_mul_f32_e32 v12, v2, v12
	v_fmac_f32_e32 v23, v0, v6
	v_fma_f32 v24, v1, v6, -v7
	v_fmac_f32_e32 v25, v2, v11
	s_waitcnt vmcnt(4)
	v_mul_f32_e32 v0, v14, v16
	v_fma_f32 v26, v3, v11, -v12
	v_mul_f32_e32 v1, v13, v16
	s_waitcnt vmcnt(2)
	v_mul_f32_e32 v2, v5, v20
	v_mul_f32_e32 v3, v4, v20
	s_waitcnt vmcnt(0)
	v_mul_f32_e32 v6, v18, v22
	v_mul_f32_e32 v7, v17, v22
	v_fmac_f32_e32 v0, v13, v15
	v_fma_f32 v1, v14, v15, -v1
	v_fmac_f32_e32 v2, v4, v19
	v_fma_f32 v3, v5, v19, -v3
	;; [unrolled: 2-line block ×3, first 2 shown]
	ds_write2_b64 v27, v[23:24], v[25:26] offset0:1 offset1:241
	ds_write2_b64 v28, v[0:1], v[2:3] offset0:1 offset1:241
	ds_write_b64 v169, v[6:7] offset:9480
.LBB0_3:
	s_or_b32 exec_lo, exec_lo, s2
	v_add_nc_u32_e32 v11, 0xc00, v169
	v_add_nc_u32_e32 v16, 0x1c00, v169
	s_waitcnt lgkmcnt(0)
	s_barrier
	buffer_gl0_inv
	ds_read2_b64 v[0:3], v169 offset1:75
	ds_read2_b64 v[4:7], v169 offset0:150 offset1:240
	ds_read2_b64 v[24:27], v11 offset0:96 offset1:171
	;; [unrolled: 1-line block ×6, first 2 shown]
	ds_read_b64 v[36:37], v169 offset:8880
                                        ; implicit-def: $vgpr32
                                        ; implicit-def: $vgpr8
                                        ; implicit-def: $vgpr39
	s_and_saveexec_b32 s0, vcc_lo
	s_cbranch_execz .LBB0_5
; %bb.4:
	v_add_nc_u32_e32 v8, 0x700, v169
	v_add_nc_u32_e32 v9, 0x1600, v169
	ds_read2_b64 v[32:35], v8 offset0:1 offset1:241
	ds_read2_b64 v[8:11], v9 offset0:1 offset1:241
	ds_read_b64 v[39:40], v169 offset:9480
.LBB0_5:
	s_or_b32 exec_lo, exec_lo, s0
	s_waitcnt lgkmcnt(4)
	v_add_f32_e32 v38, v24, v14
	v_add_f32_e32 v42, v0, v6
	v_add_co_u32 v76, s0, 0x4b, v170
	s_waitcnt lgkmcnt(3)
	v_sub_f32_e32 v44, v7, v29
	v_fma_f32 v41, -0.5, v38, v0
	v_add_co_ci_u32_e64 v38, null, 0, 0, s0
	v_add_f32_e32 v38, v42, v24
	v_sub_f32_e32 v45, v6, v24
	v_sub_f32_e32 v46, v28, v14
	v_add_f32_e32 v47, v6, v28
	v_add_co_u32 v75, s0, 0x96, v170
	v_add_f32_e32 v38, v38, v14
	v_add_co_ci_u32_e64 v48, null, 0, 0, s0
	v_fmamk_f32 v43, v44, 0x3f737871, v41
	v_sub_f32_e32 v42, v25, v15
	v_add_f32_e32 v46, v45, v46
	v_fma_f32 v0, -0.5, v47, v0
	v_add_f32_e32 v45, v38, v28
	v_fmac_f32_e32 v41, 0xbf737871, v44
	v_sub_f32_e32 v38, v24, v6
	v_sub_f32_e32 v47, v14, v28
	v_add_f32_e32 v48, v1, v7
	v_fmac_f32_e32 v43, 0x3f167918, v42
	v_fmac_f32_e32 v41, 0xbf167918, v42
	v_add_f32_e32 v49, v25, v15
	v_add_f32_e32 v38, v38, v47
	v_add_f32_e32 v47, v48, v25
	v_fmac_f32_e32 v43, 0x3e9e377a, v46
	v_fmamk_f32 v50, v42, 0xbf737871, v0
	v_fmac_f32_e32 v0, 0x3f737871, v42
	v_fma_f32 v42, -0.5, v49, v1
	v_sub_f32_e32 v28, v6, v28
	v_fmac_f32_e32 v41, 0x3e9e377a, v46
	v_add_f32_e32 v6, v47, v15
	v_add_f32_e32 v46, v7, v29
	v_fmac_f32_e32 v50, 0x3f167918, v44
	v_fmac_f32_e32 v0, 0xbf167918, v44
	v_fmamk_f32 v44, v28, 0xbf737871, v42
	v_sub_f32_e32 v14, v24, v14
	v_sub_f32_e32 v24, v7, v25
	;; [unrolled: 1-line block ×3, first 2 shown]
	v_fma_f32 v1, -0.5, v46, v1
	v_add_f32_e32 v46, v6, v29
	v_fmac_f32_e32 v42, 0x3f737871, v28
	v_sub_f32_e32 v6, v25, v7
	v_sub_f32_e32 v7, v15, v29
	s_waitcnt lgkmcnt(1)
	v_add_f32_e32 v15, v26, v20
	v_fmac_f32_e32 v44, 0xbf167918, v14
	v_add_f32_e32 v24, v24, v47
	v_fmac_f32_e32 v42, 0x3f167918, v14
	v_add_f32_e32 v7, v6, v7
	v_add_f32_e32 v25, v2, v16
	v_fma_f32 v6, -0.5, v15, v2
	v_sub_f32_e32 v15, v17, v31
	v_add_f32_e32 v47, v16, v30
	v_fmamk_f32 v51, v14, 0x3f737871, v1
	v_fmac_f32_e32 v44, 0x3e9e377a, v24
	v_fmac_f32_e32 v42, 0x3e9e377a, v24
	v_fmac_f32_e32 v1, 0xbf737871, v14
	v_add_f32_e32 v24, v25, v26
	v_fmamk_f32 v14, v15, 0x3f737871, v6
	v_sub_f32_e32 v25, v27, v21
	v_fma_f32 v2, -0.5, v47, v2
	v_fmac_f32_e32 v6, 0xbf737871, v15
	v_add_f32_e32 v47, v3, v17
	v_fmac_f32_e32 v50, 0x3e9e377a, v38
	v_fmac_f32_e32 v0, 0x3e9e377a, v38
	;; [unrolled: 1-line block ×3, first 2 shown]
	v_sub_f32_e32 v29, v16, v26
	v_sub_f32_e32 v38, v30, v20
	v_fmac_f32_e32 v1, 0x3f167918, v28
	v_add_f32_e32 v24, v24, v20
	v_fmac_f32_e32 v14, 0x3f167918, v25
	v_fmamk_f32 v28, v25, 0xbf737871, v2
	v_fmac_f32_e32 v6, 0xbf167918, v25
	v_fmac_f32_e32 v2, 0x3f737871, v25
	v_add_f32_e32 v25, v47, v27
	v_fmac_f32_e32 v51, 0x3e9e377a, v7
	v_add_f32_e32 v29, v29, v38
	;; [unrolled: 2-line block ×3, first 2 shown]
	v_sub_f32_e32 v7, v26, v16
	v_sub_f32_e32 v38, v20, v30
	v_add_f32_e32 v48, v27, v21
	v_sub_f32_e32 v30, v16, v30
	v_add_f32_e32 v16, v25, v21
	v_add_f32_e32 v25, v17, v31
	v_fmac_f32_e32 v14, 0x3e9e377a, v29
	v_add_f32_e32 v38, v7, v38
	v_fma_f32 v7, -0.5, v48, v3
	v_fmac_f32_e32 v6, 0x3e9e377a, v29
	v_sub_f32_e32 v20, v26, v20
	v_sub_f32_e32 v26, v17, v27
	;; [unrolled: 1-line block ×3, first 2 shown]
	v_fmac_f32_e32 v3, -0.5, v25
	v_fmac_f32_e32 v28, 0x3f167918, v15
	v_fmac_f32_e32 v2, 0xbf167918, v15
	v_fmamk_f32 v15, v30, 0xbf737871, v7
	v_add_f32_e32 v25, v16, v31
	v_add_f32_e32 v26, v26, v29
	v_fmac_f32_e32 v7, 0x3f737871, v30
	v_fmamk_f32 v29, v20, 0x3f737871, v3
	v_sub_f32_e32 v16, v27, v17
	v_sub_f32_e32 v17, v21, v31
	v_add_f32_e32 v21, v12, v22
	v_fmac_f32_e32 v3, 0xbf737871, v20
	v_fmac_f32_e32 v28, 0x3e9e377a, v38
	;; [unrolled: 1-line block ×6, first 2 shown]
	v_add_f32_e32 v17, v16, v17
	v_add_f32_e32 v27, v4, v18
	v_fma_f32 v16, -0.5, v21, v4
	s_waitcnt lgkmcnt(0)
	v_sub_f32_e32 v21, v19, v37
	v_sub_f32_e32 v31, v18, v12
	;; [unrolled: 1-line block ×3, first 2 shown]
	v_add_f32_e32 v47, v18, v36
	v_fmac_f32_e32 v3, 0x3f167918, v30
	v_fmac_f32_e32 v15, 0x3e9e377a, v26
	v_fmac_f32_e32 v7, 0x3e9e377a, v26
	v_fmac_f32_e32 v29, 0x3e9e377a, v17
	v_add_f32_e32 v26, v27, v12
	v_fmamk_f32 v20, v21, 0x3f737871, v16
	v_sub_f32_e32 v27, v13, v23
	v_add_f32_e32 v31, v31, v38
	v_fma_f32 v4, -0.5, v47, v4
	v_fmac_f32_e32 v3, 0x3e9e377a, v17
	v_fmac_f32_e32 v16, 0xbf737871, v21
	v_sub_f32_e32 v17, v12, v18
	v_sub_f32_e32 v38, v22, v36
	v_add_f32_e32 v47, v5, v19
	v_add_f32_e32 v48, v13, v23
	;; [unrolled: 1-line block ×3, first 2 shown]
	v_fmac_f32_e32 v20, 0x3f167918, v27
	v_fmamk_f32 v30, v27, 0xbf737871, v4
	v_fmac_f32_e32 v16, 0xbf167918, v27
	v_add_f32_e32 v38, v17, v38
	v_fmac_f32_e32 v4, 0x3f737871, v27
	v_add_f32_e32 v27, v47, v13
	v_fma_f32 v17, -0.5, v48, v5
	v_sub_f32_e32 v18, v18, v36
	v_add_f32_e32 v26, v26, v36
	v_fmac_f32_e32 v20, 0x3e9e377a, v31
	v_fmac_f32_e32 v30, 0x3f167918, v21
	;; [unrolled: 1-line block ×4, first 2 shown]
	v_add_f32_e32 v27, v27, v23
	v_fmamk_f32 v21, v18, 0xbf737871, v17
	v_add_f32_e32 v31, v19, v37
	v_sub_f32_e32 v12, v12, v22
	v_sub_f32_e32 v22, v19, v13
	;; [unrolled: 1-line block ×3, first 2 shown]
	v_fmac_f32_e32 v17, 0x3f737871, v18
	v_sub_f32_e32 v13, v13, v19
	v_sub_f32_e32 v19, v23, v37
	v_add_f32_e32 v23, v8, v10
	v_fmac_f32_e32 v5, -0.5, v31
	v_fmac_f32_e32 v21, 0xbf167918, v12
	v_add_f32_e32 v22, v22, v36
	v_fmac_f32_e32 v17, 0x3f167918, v12
	v_add_f32_e32 v13, v13, v19
	v_add_f32_e32 v19, v32, v34
	v_fma_f32 v72, -0.5, v23, v32
	v_sub_f32_e32 v23, v35, v40
	v_fmac_f32_e32 v30, 0x3e9e377a, v38
	v_fmac_f32_e32 v4, 0x3e9e377a, v38
	v_add_f32_e32 v27, v27, v37
	v_fmamk_f32 v31, v12, 0x3f737871, v5
	v_fmac_f32_e32 v21, 0x3e9e377a, v22
	v_fmac_f32_e32 v17, 0x3e9e377a, v22
	;; [unrolled: 1-line block ×3, first 2 shown]
	v_add_f32_e32 v12, v19, v8
	v_fmamk_f32 v38, v23, 0x3f737871, v72
	v_sub_f32_e32 v19, v9, v11
	v_sub_f32_e32 v22, v34, v8
	;; [unrolled: 1-line block ×3, first 2 shown]
	v_add_f32_e32 v37, v34, v39
	v_fmac_f32_e32 v72, 0xbf737871, v23
	v_fmac_f32_e32 v31, 0xbf167918, v18
	;; [unrolled: 1-line block ×3, first 2 shown]
	v_add_f32_e32 v12, v12, v10
	v_fmac_f32_e32 v38, 0x3f167918, v19
	v_add_f32_e32 v18, v22, v36
	v_fmac_f32_e32 v32, -0.5, v37
	v_fmac_f32_e32 v72, 0xbf167918, v19
	v_add_f32_e32 v37, v9, v11
	v_fmac_f32_e32 v31, 0x3e9e377a, v13
	v_fmac_f32_e32 v5, 0x3e9e377a, v13
	v_add_f32_e32 v36, v12, v39
	v_fmac_f32_e32 v38, 0x3e9e377a, v18
	v_fmamk_f32 v48, v19, 0xbf737871, v32
	v_sub_f32_e32 v12, v8, v34
	v_sub_f32_e32 v13, v10, v39
	v_add_f32_e32 v22, v33, v35
	v_fmac_f32_e32 v32, 0x3f737871, v19
	v_fma_f32 v73, -0.5, v37, v33
	v_sub_f32_e32 v19, v34, v39
	v_fmac_f32_e32 v72, 0x3e9e377a, v18
	v_add_f32_e32 v18, v35, v40
	v_add_f32_e32 v12, v12, v13
	;; [unrolled: 1-line block ×3, first 2 shown]
	v_fmamk_f32 v39, v19, 0xbf737871, v73
	v_sub_f32_e32 v8, v8, v10
	v_fmac_f32_e32 v33, -0.5, v18
	v_fmac_f32_e32 v73, 0x3f737871, v19
	s_load_dwordx2 s[2:3], s[4:5], 0x8
	v_add_f32_e32 v13, v13, v11
	v_sub_f32_e32 v10, v35, v9
	v_sub_f32_e32 v22, v40, v11
	v_fmac_f32_e32 v39, 0xbf167918, v8
	v_fmamk_f32 v49, v8, 0x3f737871, v33
	v_sub_f32_e32 v9, v9, v35
	v_sub_f32_e32 v11, v11, v40
	v_fmac_f32_e32 v33, 0xbf737871, v8
	v_fmac_f32_e32 v73, 0x3f167918, v8
	v_mul_lo_u16 v8, v170, 5
	v_fmac_f32_e32 v49, 0xbf167918, v19
	v_add_f32_e32 v9, v9, v11
	v_fmac_f32_e32 v33, 0x3f167918, v19
	v_add_co_u32 v74, null, 0xe1, v170
	v_and_b32_e32 v8, 0xffff, v8
	v_fmac_f32_e32 v48, 0x3f167918, v23
	v_fmac_f32_e32 v32, 0xbf167918, v23
	v_add_f32_e32 v10, v10, v22
	v_fmac_f32_e32 v49, 0x3e9e377a, v9
	v_fmac_f32_e32 v33, 0x3e9e377a, v9
	v_mul_u32_u24_e32 v9, 5, v76
	v_lshl_add_u32 v178, v8, 3, v171
	v_mul_u32_u24_e32 v8, 5, v75
	v_fmac_f32_e32 v48, 0x3e9e377a, v12
	v_fmac_f32_e32 v32, 0x3e9e377a, v12
	v_add_f32_e32 v37, v13, v40
	v_fmac_f32_e32 v39, 0x3e9e377a, v10
	v_fmac_f32_e32 v73, 0x3e9e377a, v10
	v_lshl_add_u32 v176, v9, 3, v171
	v_lshl_add_u32 v177, v8, 3, v171
	v_mul_u32_u24_e32 v179, 5, v74
	s_waitcnt lgkmcnt(0)
	s_barrier
	buffer_gl0_inv
	ds_write2_b64 v178, v[45:46], v[43:44] offset1:1
	ds_write2_b64 v178, v[50:51], v[0:1] offset0:2 offset1:3
	ds_write_b64 v178, v[41:42] offset:32
	ds_write2_b64 v176, v[24:25], v[14:15] offset1:1
	ds_write2_b64 v176, v[28:29], v[2:3] offset0:2 offset1:3
	ds_write_b64 v176, v[6:7] offset:32
	;; [unrolled: 3-line block ×3, first 2 shown]
	s_and_saveexec_b32 s0, vcc_lo
	s_cbranch_execz .LBB0_7
; %bb.6:
	v_lshl_add_u32 v2, v179, 3, v171
	v_mov_b32_e32 v0, v32
	v_mov_b32_e32 v1, v33
	ds_write2_b64 v2, v[36:37], v[38:39] offset1:1
	ds_write2_b64 v2, v[48:49], v[0:1] offset0:2 offset1:3
	ds_write_b64 v2, v[72:73] offset:32
.LBB0_7:
	s_or_b32 exec_lo, exec_lo, s0
	v_add_nc_u32_e32 v0, 0xc00, v169
	v_add_nc_u32_e32 v1, 0x1000, v169
	;; [unrolled: 1-line block ×5, first 2 shown]
	s_waitcnt lgkmcnt(0)
	s_barrier
	buffer_gl0_inv
	ds_read2_b64 v[44:47], v169 offset1:75
	ds_read2_b64 v[40:43], v169 offset0:150 offset1:240
	ds_read2_b64 v[68:71], v0 offset0:96 offset1:171
	;; [unrolled: 1-line block ×6, first 2 shown]
	ds_read_b64 v[34:35], v169 offset:8880
	s_and_saveexec_b32 s0, vcc_lo
	s_cbranch_execz .LBB0_9
; %bb.8:
	v_add_nc_u32_e32 v0, 0x1600, v169
	ds_read2_b64 v[48:51], v0 offset0:1 offset1:241
	v_add_nc_u32_e32 v0, 0x700, v169
	ds_read_b64 v[72:73], v169 offset:9480
	ds_read2_b64 v[36:39], v0 offset0:1 offset1:241
	s_waitcnt lgkmcnt(2)
	v_mov_b32_e32 v32, v50
	v_mov_b32_e32 v33, v51
.LBB0_9:
	s_or_b32 exec_lo, exec_lo, s0
	v_and_b32_e32 v50, 0xff, v170
	v_and_b32_e32 v1, 0xff, v76
	;; [unrolled: 1-line block ×3, first 2 shown]
	v_mov_b32_e32 v84, 25
	v_mul_lo_u16 v0, 0xcd, v50
	v_lshrrev_b16 v78, 10, v0
	v_mul_lo_u16 v0, 0xcd, v1
	v_mul_lo_u16 v1, v78, 5
	v_lshrrev_b16 v79, 10, v0
	v_mov_b32_e32 v0, 5
	v_mul_u32_u24_sdwa v78, v78, v84 dst_sel:DWORD dst_unused:UNUSED_PAD src0_sel:WORD_0 src1_sel:DWORD
	v_sub_nc_u16 v80, v170, v1
	v_mul_lo_u16 v1, 0xcd, v2
	v_mul_lo_u16 v2, v79, 5
	v_mul_u32_u24_sdwa v79, v79, v84 dst_sel:DWORD dst_unused:UNUSED_PAD src0_sel:WORD_0 src1_sel:DWORD
	v_lshlrev_b32_sdwa v3, v0, v80 dst_sel:DWORD dst_unused:UNUSED_PAD src0_sel:DWORD src1_sel:BYTE_0
	v_lshrrev_b16 v81, 10, v1
	v_sub_nc_u16 v82, v76, v2
	v_add_nc_u32_sdwa v78, v78, v80 dst_sel:DWORD dst_unused:UNUSED_PAD src0_sel:DWORD src1_sel:BYTE_0
	s_clause 0x1
	global_load_dwordx4 v[28:31], v3, s[2:3]
	global_load_dwordx4 v[24:27], v3, s[2:3] offset:16
	v_mul_lo_u16 v1, v81, 5
	v_lshlrev_b32_sdwa v2, v0, v82 dst_sel:DWORD dst_unused:UNUSED_PAD src0_sel:DWORD src1_sel:BYTE_0
	v_mul_u32_u24_sdwa v81, v81, v84 dst_sel:DWORD dst_unused:UNUSED_PAD src0_sel:WORD_0 src1_sel:DWORD
	v_add_nc_u32_sdwa v79, v79, v82 dst_sel:DWORD dst_unused:UNUSED_PAD src0_sel:DWORD src1_sel:BYTE_0
	v_lshl_add_u32 v175, v78, 3, v171
	v_sub_nc_u16 v83, v75, v1
	v_mov_b32_e32 v1, 0xcccd
	s_clause 0x1
	global_load_dwordx4 v[20:23], v2, s[2:3]
	global_load_dwordx4 v[8:11], v2, s[2:3] offset:16
	v_lshl_add_u32 v174, v79, 3, v171
	v_lshlrev_b32_sdwa v0, v0, v83 dst_sel:DWORD dst_unused:UNUSED_PAD src0_sel:DWORD src1_sel:BYTE_0
	v_mul_u32_u24_sdwa v1, v74, v1 dst_sel:DWORD dst_unused:UNUSED_PAD src0_sel:WORD_0 src1_sel:DWORD
	v_add_nc_u32_sdwa v80, v81, v83 dst_sel:DWORD dst_unused:UNUSED_PAD src0_sel:DWORD src1_sel:BYTE_0
	s_clause 0x1
	global_load_dwordx4 v[16:19], v0, s[2:3]
	global_load_dwordx4 v[4:7], v0, s[2:3] offset:16
	v_lshrrev_b32_e32 v51, 18, v1
	v_lshl_add_u32 v173, v80, 3, v171
	v_mul_lo_u16 v0, v51, 5
	v_sub_nc_u16 v77, v74, v0
	v_mov_b32_e32 v0, 3
	v_lshlrev_b16 v1, 2, v77
	v_mad_u16 v181, v51, 25, v77
	v_lshlrev_b32_sdwa v0, v0, v1 dst_sel:DWORD dst_unused:UNUSED_PAD src0_sel:DWORD src1_sel:WORD_0
	s_clause 0x1
	global_load_dwordx4 v[12:15], v0, s[2:3]
	global_load_dwordx4 v[0:3], v0, s[2:3] offset:16
	s_waitcnt vmcnt(0) lgkmcnt(0)
	s_barrier
	buffer_gl0_inv
	v_mul_f32_e32 v78, v43, v29
	v_mul_f32_e32 v79, v42, v29
	;; [unrolled: 1-line block ×8, first 2 shown]
	v_fma_f32 v78, v42, v28, -v78
	v_mul_f32_e32 v86, v61, v21
	v_mul_f32_e32 v87, v60, v21
	;; [unrolled: 1-line block ×16, first 2 shown]
	v_fmac_f32_e32 v79, v43, v28
	v_fma_f32 v68, v68, v30, -v80
	v_fmac_f32_e32 v81, v69, v30
	v_fma_f32 v69, v54, v24, -v82
	v_fmac_f32_e32 v83, v55, v24
	v_fma_f32 v80, v64, v26, -v84
	v_fmac_f32_e32 v85, v65, v26
	v_fma_f32 v54, v60, v20, -v86
	v_fmac_f32_e32 v87, v61, v20
	v_fma_f32 v55, v70, v22, -v88
	v_fmac_f32_e32 v89, v71, v22
	v_fma_f32 v60, v56, v8, -v90
	v_fmac_f32_e32 v91, v57, v8
	v_fma_f32 v71, v66, v10, -v92
	v_fmac_f32_e32 v93, v67, v10
	v_fma_f32 v57, v52, v18, -v96
	v_fmac_f32_e32 v97, v53, v18
	v_fmac_f32_e32 v99, v59, v4
	v_fma_f32 v82, v34, v6, -v100
	v_fmac_f32_e32 v101, v35, v6
	v_mul_f32_e32 v52, v39, v13
	v_mul_f32_e32 v43, v38, v13
	;; [unrolled: 1-line block ×8, first 2 shown]
	v_fma_f32 v56, v62, v16, -v94
	v_fmac_f32_e32 v95, v63, v16
	v_fma_f32 v52, v38, v12, -v52
	v_fmac_f32_e32 v43, v39, v12
	;; [unrolled: 2-line block ×5, first 2 shown]
	v_add_f32_e32 v48, v68, v69
	v_sub_f32_e32 v49, v78, v68
	v_sub_f32_e32 v53, v80, v69
	v_add_f32_e32 v59, v78, v80
	v_sub_f32_e32 v61, v68, v78
	v_sub_f32_e32 v62, v69, v80
	v_add_f32_e32 v64, v81, v83
	v_add_f32_e32 v67, v79, v85
	;; [unrolled: 1-line block ×3, first 2 shown]
	v_sub_f32_e32 v90, v87, v93
	v_sub_f32_e32 v94, v54, v55
	;; [unrolled: 1-line block ×3, first 2 shown]
	v_add_f32_e32 v103, v47, v87
	v_sub_f32_e32 v107, v87, v89
	v_sub_f32_e32 v108, v93, v91
	v_add_f32_e32 v109, v87, v93
	v_sub_f32_e32 v87, v89, v87
	v_sub_f32_e32 v110, v91, v93
	v_fma_f32 v58, v58, v4, -v98
	v_add_f32_e32 v33, v44, v78
	v_add_f32_e32 v63, v45, v79
	;; [unrolled: 1-line block ×3, first 2 shown]
	v_sub_f32_e32 v92, v89, v91
	v_sub_f32_e32 v100, v55, v54
	;; [unrolled: 1-line block ×3, first 2 shown]
	v_add_f32_e32 v104, v89, v91
	v_add_f32_e32 v111, v40, v56
	;; [unrolled: 1-line block ×3, first 2 shown]
	v_sub_f32_e32 v122, v95, v97
	v_sub_f32_e32 v123, v101, v99
	v_add_f32_e32 v172, v49, v53
	v_add_f32_e32 v180, v61, v62
	v_fma_f32 v48, -0.5, v48, v44
	v_fma_f32 v49, -0.5, v64, v45
	;; [unrolled: 1-line block ×4, first 2 shown]
	v_add_f32_e32 v59, v86, v55
	v_add_f32_e32 v94, v94, v96
	;; [unrolled: 1-line block ×8, first 2 shown]
	v_sub_f32_e32 v87, v43, v42
	v_sub_f32_e32 v107, v34, v35
	v_add_f32_e32 v108, v43, v34
	v_sub_f32_e32 v65, v79, v81
	v_sub_f32_e32 v66, v85, v83
	v_add_f32_e32 v112, v57, v58
	v_add_f32_e32 v121, v97, v99
	v_sub_f32_e32 v72, v79, v85
	v_sub_f32_e32 v79, v81, v79
	;; [unrolled: 1-line block ×3, first 2 shown]
	v_add_f32_e32 v117, v56, v82
	v_add_f32_e32 v167, v95, v101
	;; [unrolled: 1-line block ×3, first 2 shown]
	v_sub_f32_e32 v73, v78, v80
	v_sub_f32_e32 v105, v54, v71
	;; [unrolled: 1-line block ×10, first 2 shown]
	v_add_f32_e32 v61, v63, v81
	v_fma_f32 v53, -0.5, v88, v46
	v_add_f32_e32 v88, v100, v102
	v_fma_f32 v54, -0.5, v104, v47
	v_add_f32_e32 v57, v111, v57
	v_add_f32_e32 v63, v120, v97
	;; [unrolled: 1-line block ×3, first 2 shown]
	v_sub_f32_e32 v102, v43, v34
	v_sub_f32_e32 v103, v42, v35
	;; [unrolled: 1-line block ×4, first 2 shown]
	v_fma_f32 v122, -0.5, v64, v36
	v_fma_f32 v123, -0.5, v86, v37
	v_add_f32_e32 v107, v87, v107
	v_fma_f32 v86, -0.5, v67, v36
	v_fma_f32 v87, -0.5, v108, v37
	v_sub_f32_e32 v70, v81, v83
	v_sub_f32_e32 v78, v68, v69
	;; [unrolled: 1-line block ×4, first 2 shown]
	v_add_f32_e32 v81, v65, v66
	v_fma_f32 v55, -0.5, v112, v40
	v_fma_f32 v56, -0.5, v121, v41
	v_sub_f32_e32 v65, v52, v39
	v_sub_f32_e32 v66, v32, v38
	v_add_f32_e32 v33, v33, v68
	v_add_f32_e32 v84, v79, v84
	v_fma_f32 v40, -0.5, v117, v40
	v_fmac_f32_e32 v41, -0.5, v167
	v_sub_f32_e32 v68, v39, v52
	v_sub_f32_e32 v79, v38, v32
	v_fma_f32 v46, -0.5, v98, v46
	v_fmac_f32_e32 v47, -0.5, v109
	v_add_f32_e32 v98, v115, v116
	v_add_f32_e32 v100, v118, v119
	v_sub_f32_e32 v109, v42, v43
	v_sub_f32_e32 v110, v35, v34
	v_add_f32_e32 v83, v61, v83
	v_add_f32_e32 v91, v62, v91
	;; [unrolled: 1-line block ×3, first 2 shown]
	v_fmamk_f32 v57, v72, 0x3f737871, v48
	v_fmamk_f32 v58, v73, 0xbf737871, v49
	;; [unrolled: 1-line block ×3, first 2 shown]
	v_fmac_f32_e32 v53, 0xbf737871, v90
	v_fmamk_f32 v62, v105, 0xbf737871, v54
	v_fmac_f32_e32 v54, 0x3f737871, v105
	v_fmamk_f32 v116, v102, 0x3f737871, v122
	;; [unrolled: 2-line block ×5, first 2 shown]
	v_fmac_f32_e32 v87, 0xbf737871, v111
	v_add_f32_e32 v112, v59, v60
	v_add_f32_e32 v120, v65, v66
	v_fmamk_f32 v59, v70, 0xbf737871, v44
	v_fmac_f32_e32 v44, 0x3f737871, v70
	v_fmamk_f32 v60, v78, 0x3f737871, v45
	v_fmac_f32_e32 v45, 0xbf737871, v78
	v_fmamk_f32 v65, v113, 0x3f737871, v55
	v_fmamk_f32 v66, v165, 0xbf737871, v56
	v_sub_f32_e32 v168, v99, v101
	v_fmac_f32_e32 v48, 0xbf737871, v72
	v_add_f32_e32 v121, v68, v79
	v_fmac_f32_e32 v49, 0x3f737871, v73
	v_fmamk_f32 v67, v114, 0xbf737871, v40
	v_fmac_f32_e32 v40, 0x3f737871, v114
	v_fmamk_f32 v68, v166, 0x3f737871, v41
	v_fmac_f32_e32 v41, 0xbf737871, v166
	v_fmac_f32_e32 v55, 0xbf737871, v113
	;; [unrolled: 1-line block ×3, first 2 shown]
	v_add_f32_e32 v99, v63, v99
	v_fmamk_f32 v63, v92, 0xbf737871, v46
	v_fmac_f32_e32 v46, 0x3f737871, v92
	v_fmamk_f32 v64, v106, 0x3f737871, v47
	v_fmac_f32_e32 v47, 0xbf737871, v106
	v_add_f32_e32 v33, v33, v69
	v_add_f32_e32 v108, v109, v110
	v_fmac_f32_e32 v57, 0x3f167918, v70
	v_fmac_f32_e32 v58, 0xbf167918, v78
	;; [unrolled: 1-line block ×18, first 2 shown]
	v_add_f32_e32 v95, v95, v168
	v_fmac_f32_e32 v48, 0xbf167918, v70
	v_fmac_f32_e32 v49, 0x3f167918, v78
	;; [unrolled: 1-line block ×14, first 2 shown]
	v_add_f32_e32 v69, v33, v80
	v_add_f32_e32 v70, v83, v85
	v_fmac_f32_e32 v57, 0x3e9e377a, v172
	v_fmac_f32_e32 v58, 0x3e9e377a, v81
	;; [unrolled: 1-line block ×12, first 2 shown]
	v_add_f32_e32 v78, v115, v82
	v_add_f32_e32 v79, v99, v101
	v_fmac_f32_e32 v59, 0x3e9e377a, v180
	v_fmac_f32_e32 v44, 0x3e9e377a, v180
	v_fmac_f32_e32 v60, 0x3e9e377a, v84
	v_fmac_f32_e32 v45, 0x3e9e377a, v84
	v_fmac_f32_e32 v65, 0x3e9e377a, v98
	v_fmac_f32_e32 v66, 0x3e9e377a, v97
	v_fmac_f32_e32 v48, 0x3e9e377a, v172
	v_fmac_f32_e32 v49, 0x3e9e377a, v81
	v_fmac_f32_e32 v67, 0x3e9e377a, v100
	v_fmac_f32_e32 v40, 0x3e9e377a, v100
	v_fmac_f32_e32 v68, 0x3e9e377a, v95
	v_fmac_f32_e32 v41, 0x3e9e377a, v95
	v_add_f32_e32 v71, v112, v71
	v_add_f32_e32 v72, v91, v93
	v_fmac_f32_e32 v61, 0x3e9e377a, v94
	v_fmac_f32_e32 v62, 0x3e9e377a, v89
	;; [unrolled: 1-line block ×8, first 2 shown]
	ds_write2_b64 v175, v[69:70], v[57:58] offset1:5
	ds_write2_b64 v175, v[59:60], v[44:45] offset0:10 offset1:15
	ds_write_b64 v175, v[48:49] offset:160
	ds_write2_b64 v174, v[71:72], v[61:62] offset1:5
	ds_write2_b64 v174, v[63:64], v[46:47] offset0:10 offset1:15
	ds_write_b64 v174, v[53:54] offset:160
	;; [unrolled: 3-line block ×3, first 2 shown]
	s_and_saveexec_b32 s0, vcc_lo
	s_cbranch_execz .LBB0_11
; %bb.10:
	v_add_f32_e32 v33, v37, v43
	v_add_f32_e32 v36, v36, v52
	v_and_b32_e32 v37, 0xffff, v181
	v_add_f32_e32 v33, v33, v42
	v_add_f32_e32 v36, v36, v39
	;; [unrolled: 1-line block ×4, first 2 shown]
	v_lshl_add_u32 v36, v37, 3, v171
	v_add_f32_e32 v33, v33, v34
	v_add_f32_e32 v32, v35, v32
	ds_write2_b64 v36, v[118:119], v[86:87] offset0:10 offset1:15
	ds_write2_b64 v36, v[32:33], v[116:117] offset1:5
	ds_write_b64 v36, v[122:123] offset:160
.LBB0_11:
	s_or_b32 exec_lo, exec_lo, s0
	v_mul_lo_u16 v32, v50, 41
	s_waitcnt lgkmcnt(0)
	s_barrier
	buffer_gl0_inv
	v_mov_b32_e32 v69, 0x190
	v_lshrrev_b16 v68, 10, v32
	v_add_nc_u32_e32 v100, 0x800, v169
	v_add_nc_u32_e32 v101, 0xc00, v169
	;; [unrolled: 1-line block ×4, first 2 shown]
	v_mul_lo_u16 v32, v68, 25
	v_mul_u32_u24_sdwa v77, v68, v69 dst_sel:DWORD dst_unused:UNUSED_PAD src0_sel:WORD_0 src1_sel:DWORD
	v_add_nc_u32_e32 v73, 0x1400, v169
	v_add_nc_u32_e32 v102, 0x1800, v169
	;; [unrolled: 1-line block ×3, first 2 shown]
	v_sub_nc_u16 v32, v170, v32
	v_cmp_gt_u16_e64 s0, 25, v170
	v_and_b32_e32 v72, 0xff, v32
	v_mad_u64_u32 v[60:61], null, 0x78, v72, s[2:3]
	v_add_nc_u32_e32 v72, v77, v72
	s_clause 0x7
	global_load_dwordx4 v[56:59], v[60:61], off offset:160
	global_load_dwordx4 v[48:51], v[60:61], off offset:176
	;; [unrolled: 1-line block ×7, first 2 shown]
	global_load_dwordx2 v[165:166], v[60:61], off offset:272
	ds_read2_b64 v[60:63], v169 offset1:75
	ds_read2_b64 v[64:67], v169 offset0:150 offset1:225
	ds_read2_b64 v[68:71], v100 offset0:44 offset1:119
	;; [unrolled: 1-line block ×7, first 2 shown]
	v_lshl_add_u32 v180, v72, 3, v171
	s_waitcnt vmcnt(0) lgkmcnt(0)
	s_barrier
	buffer_gl0_inv
	v_add_nc_u32_e32 v106, 0x800, v180
	v_add_nc_u32_e32 v105, 0x400, v180
	v_mul_f32_e32 v72, v63, v57
	v_mul_f32_e32 v73, v62, v57
	;; [unrolled: 1-line block ×30, first 2 shown]
	v_fma_f32 v62, v62, v56, -v72
	v_fmac_f32_e32 v73, v63, v56
	v_fma_f32 v63, v64, v58, -v85
	v_fmac_f32_e32 v107, v65, v58
	;; [unrolled: 2-line block ×15, first 2 shown]
	v_sub_f32_e32 v69, v60, v69
	v_sub_f32_e32 v81, v61, v168
	v_sub_f32_e32 v77, v65, v77
	v_sub_f32_e32 v82, v111, v188
	v_sub_f32_e32 v71, v63, v71
	v_sub_f32_e32 v83, v107, v184
	v_sub_f32_e32 v79, v67, v79
	v_sub_f32_e32 v84, v115, v192
	v_sub_f32_e32 v70, v62, v70
	v_sub_f32_e32 v85, v73, v182
	v_sub_f32_e32 v78, v66, v78
	v_sub_f32_e32 v88, v113, v190
	v_sub_f32_e32 v72, v64, v72
	v_sub_f32_e32 v89, v109, v186
	v_sub_f32_e32 v80, v68, v80
	v_sub_f32_e32 v90, v121, v194
	v_fma_f32 v60, v60, 2.0, -v69
	v_fma_f32 v61, v61, 2.0, -v81
	;; [unrolled: 1-line block ×16, first 2 shown]
	v_sub_f32_e32 v82, v69, v82
	v_add_f32_e32 v77, v81, v77
	v_sub_f32_e32 v84, v71, v84
	v_add_f32_e32 v79, v83, v79
	;; [unrolled: 2-line block ×4, first 2 shown]
	v_sub_f32_e32 v65, v60, v65
	v_sub_f32_e32 v91, v61, v91
	v_fma_f32 v69, v69, 2.0, -v82
	v_fma_f32 v81, v81, 2.0, -v77
	v_sub_f32_e32 v67, v63, v67
	v_sub_f32_e32 v93, v92, v93
	v_fma_f32 v71, v71, 2.0, -v84
	v_fma_f32 v83, v83, 2.0, -v79
	;; [unrolled: 4-line block ×4, first 2 shown]
	v_fmamk_f32 v96, v84, 0x3f3504f3, v82
	v_fmamk_f32 v98, v79, 0x3f3504f3, v77
	;; [unrolled: 1-line block ×4, first 2 shown]
	v_fma_f32 v108, v60, 2.0, -v65
	v_fma_f32 v109, v61, 2.0, -v91
	;; [unrolled: 1-line block ×8, first 2 shown]
	v_fmamk_f32 v92, v71, 0xbf3504f3, v69
	v_fmamk_f32 v95, v83, 0xbf3504f3, v81
	v_fmac_f32_e32 v96, 0xbf3504f3, v79
	v_fmamk_f32 v79, v72, 0xbf3504f3, v70
	v_fmamk_f32 v111, v89, 0xbf3504f3, v97
	v_sub_f32_e32 v93, v65, v93
	v_add_f32_e32 v110, v91, v67
	v_fmac_f32_e32 v98, 0x3f3504f3, v84
	v_sub_f32_e32 v112, v66, v85
	v_add_f32_e32 v113, v94, v68
	v_fmac_f32_e32 v99, 0xbf3504f3, v80
	v_fmac_f32_e32 v107, 0x3f3504f3, v90
	v_sub_f32_e32 v80, v108, v60
	v_sub_f32_e32 v90, v109, v61
	v_fmac_f32_e32 v92, 0xbf3504f3, v83
	v_fmac_f32_e32 v95, 0x3f3504f3, v71
	v_sub_f32_e32 v67, v62, v64
	v_sub_f32_e32 v68, v63, v73
	v_fmac_f32_e32 v79, 0xbf3504f3, v89
	v_fmac_f32_e32 v111, 0x3f3504f3, v72
	v_fma_f32 v83, v65, 2.0, -v93
	v_fma_f32 v91, v91, 2.0, -v110
	;; [unrolled: 1-line block ×8, first 2 shown]
	v_fmamk_f32 v60, v112, 0x3f3504f3, v93
	v_fmamk_f32 v61, v113, 0x3f3504f3, v110
	;; [unrolled: 1-line block ×4, first 2 shown]
	v_fma_f32 v89, v108, 2.0, -v80
	v_fma_f32 v94, v109, 2.0, -v90
	;; [unrolled: 1-line block ×8, first 2 shown]
	v_fmamk_f32 v62, v77, 0xbf3504f3, v83
	v_fmamk_f32 v63, v82, 0xbf3504f3, v91
	;; [unrolled: 1-line block ×4, first 2 shown]
	v_sub_f32_e32 v66, v80, v68
	v_fmamk_f32 v68, v79, 0x3ec3ef15, v92
	v_fmamk_f32 v69, v111, 0x3ec3ef15, v95
	v_fmac_f32_e32 v60, 0xbf3504f3, v113
	v_fmac_f32_e32 v61, 0x3f3504f3, v112
	;; [unrolled: 1-line block ×4, first 2 shown]
	v_sub_f32_e32 v70, v89, v71
	v_sub_f32_e32 v71, v94, v72
	v_fmamk_f32 v72, v120, 0xbf6c835e, v108
	v_fmamk_f32 v73, v97, 0xbf6c835e, v109
	v_add_f32_e32 v67, v90, v67
	v_fmac_f32_e32 v62, 0xbf3504f3, v82
	v_fmac_f32_e32 v63, 0x3f3504f3, v77
	;; [unrolled: 1-line block ×6, first 2 shown]
	v_fma_f32 v77, v80, 2.0, -v66
	v_fma_f32 v79, v93, 2.0, -v60
	v_fma_f32 v80, v110, 2.0, -v61
	v_fma_f32 v81, v96, 2.0, -v84
	v_fma_f32 v82, v98, 2.0, -v85
	v_fmac_f32_e32 v72, 0xbec3ef15, v97
	v_fmac_f32_e32 v73, 0x3ec3ef15, v120
	v_fma_f32 v78, v90, 2.0, -v67
	ds_write2_b64 v106, v[60:61], v[84:85] offset0:94 offset1:119
	v_fma_f32 v60, v89, 2.0, -v70
	v_fma_f32 v88, v83, 2.0, -v62
	;; [unrolled: 1-line block ×8, first 2 shown]
	ds_write2_b64 v180, v[79:80], v[81:82] offset0:150 offset1:175
	ds_write2_b64 v105, v[62:63], v[64:65] offset0:122 offset1:147
	v_fma_f32 v62, v108, 2.0, -v72
	v_fma_f32 v63, v109, 2.0, -v73
	ds_write2_b64 v106, v[66:67], v[68:69] offset0:44 offset1:69
	ds_write2_b64 v180, v[88:89], v[90:91] offset0:50 offset1:75
	ds_write2_b64 v180, v[77:78], v[92:93] offset0:100 offset1:125
	ds_write2_b64 v180, v[70:71], v[72:73] offset0:200 offset1:225
	ds_write2_b64 v180, v[60:61], v[62:63] offset1:25
	s_waitcnt lgkmcnt(0)
	s_barrier
	buffer_gl0_inv
	ds_read2_b64 v[88:91], v169 offset1:75
	ds_read2_b64 v[92:95], v100 offset0:44 offset1:144
	ds_read2_b64 v[112:115], v102 offset0:32 offset1:107
	;; [unrolled: 1-line block ×6, first 2 shown]
	ds_read_b64 v[120:121], v169 offset:8800
	s_and_saveexec_b32 s1, s0
	s_cbranch_execz .LBB0_13
; %bb.12:
	ds_read_b64 v[84:85], v169 offset:3000
	ds_read_b64 v[116:117], v169 offset:6200
	;; [unrolled: 1-line block ×3, first 2 shown]
.LBB0_13:
	s_or_b32 exec_lo, exec_lo, s1
	v_lshlrev_b32_e32 v72, 4, v170
	v_lshlrev_b32_e32 v60, 4, v76
	;; [unrolled: 1-line block ×3, first 2 shown]
	v_lshl_add_u32 v172, v170, 3, v171
	v_add_co_u32 v61, s1, s2, v72
	v_add_co_ci_u32_e64 v62, null, s3, 0, s1
	v_add_co_u32 v63, s1, s2, v60
	v_add_co_ci_u32_e64 v64, null, s3, 0, s1
	v_add_co_u32 v60, s1, 0x800, v61
	v_add_co_ci_u32_e64 v61, s1, 0, v62, s1
	v_add_co_u32 v62, s1, 0x800, v63
	v_add_co_ci_u32_e64 v63, s1, 0, v64, s1
	s_clause 0x1
	global_load_dwordx4 v[76:79], v[60:61], off offset:1112
	global_load_dwordx4 v[64:67], v[62:63], off offset:1112
	v_lshlrev_b32_e32 v60, 4, v74
	v_add_co_u32 v61, s1, s2, v68
	v_add_co_ci_u32_e64 v62, null, s3, 0, s1
	v_add_co_u32 v63, s1, s2, v60
	v_add_co_ci_u32_e64 v68, null, s3, 0, s1
	v_add_co_u32 v60, s1, 0x800, v61
	v_add_co_ci_u32_e64 v61, s1, 0, v62, s1
	v_add_co_u32 v62, s1, 0x800, v63
	v_add_co_ci_u32_e64 v63, s1, 0, v68, s1
	s_clause 0x1
	global_load_dwordx4 v[80:83], v[60:61], off offset:1112
	global_load_dwordx4 v[68:71], v[62:63], off offset:1112
	v_add_nc_u32_e32 v60, 0x12c0, v72
	v_add_co_u32 v60, s1, s2, v60
	v_add_co_ci_u32_e64 v61, null, s3, 0, s1
	v_add_co_u32 v60, s1, 0x800, v60
	v_add_co_ci_u32_e64 v61, s1, 0, v61, s1
	v_add_co_u32 v62, s1, 0x177, v170
	v_add_co_ci_u32_e64 v63, null, 0, 0, s1
	global_load_dwordx4 v[72:75], v[60:61], off offset:1112
	v_add_co_u32 v60, s1, 0xffffffe7, v170
	v_add_co_ci_u32_e64 v61, null, 0, -1, s1
	v_cndmask_b32_e64 v60, v60, v62, s0
	v_cndmask_b32_e64 v61, v61, v63, s0
	v_lshlrev_b64 v[60:61], 4, v[60:61]
	v_add_co_u32 v60, s1, s2, v60
	v_add_co_ci_u32_e64 v61, s1, s3, v61, s1
	v_add_co_u32 v60, s1, 0x800, v60
	v_add_co_ci_u32_e64 v61, s1, 0, v61, s1
	global_load_dwordx4 v[60:63], v[60:61], off offset:1112
	s_waitcnt vmcnt(5) lgkmcnt(6)
	v_mul_f32_e32 v168, v94, v77
	s_waitcnt lgkmcnt(5)
	v_mul_f32_e32 v182, v113, v79
	s_waitcnt vmcnt(4) lgkmcnt(4)
	v_mul_f32_e32 v184, v109, v65
	v_mul_f32_e32 v185, v108, v65
	;; [unrolled: 1-line block ×6, first 2 shown]
	v_fmac_f32_e32 v168, v95, v76
	v_fma_f32 v95, v112, v78, -v182
	v_fma_f32 v108, v108, v64, -v184
	v_fmac_f32_e32 v185, v109, v64
	v_fmac_f32_e32 v187, v115, v66
	v_fma_f32 v94, v94, v76, -v167
	v_fmac_f32_e32 v183, v113, v78
	v_fma_f32 v109, v114, v66, -v186
	v_add_f32_e32 v182, v185, v187
	v_sub_f32_e32 v167, v185, v187
	v_sub_f32_e32 v113, v94, v95
	s_waitcnt vmcnt(3)
	v_mul_f32_e32 v189, v110, v81
	s_waitcnt lgkmcnt(2)
	v_mul_f32_e32 v190, v101, v83
	v_mul_f32_e32 v191, v100, v83
	s_waitcnt vmcnt(2) lgkmcnt(1)
	v_mul_f32_e32 v192, v105, v69
	v_mul_f32_e32 v194, v103, v71
	;; [unrolled: 1-line block ×5, first 2 shown]
	v_fmac_f32_e32 v189, v111, v80
	v_fma_f32 v111, v100, v82, -v190
	v_fmac_f32_e32 v191, v101, v82
	v_fma_f32 v100, v104, v68, -v192
	v_fma_f32 v104, v102, v70, -v194
	;; [unrolled: 1-line block ×3, first 2 shown]
	v_fmac_f32_e32 v193, v105, v68
	v_fmac_f32_e32 v195, v103, v70
	v_add_f32_e32 v103, v89, v168
	v_add_f32_e32 v105, v168, v183
	v_sub_f32_e32 v184, v108, v109
	v_sub_f32_e32 v190, v110, v111
	s_waitcnt vmcnt(1)
	v_mul_f32_e32 v101, v107, v73
	v_mul_f32_e32 v112, v106, v73
	s_waitcnt lgkmcnt(0)
	v_mul_f32_e32 v102, v121, v75
	v_mul_f32_e32 v115, v120, v75
	v_add_f32_e32 v192, v100, v104
	v_fma_f32 v106, v106, v72, -v101
	v_fmac_f32_e32 v112, v107, v72
	v_fma_f32 v114, v120, v74, -v102
	v_add_f32_e32 v120, v90, v108
	v_fmac_f32_e32 v115, v121, v74
	v_add_f32_e32 v101, v88, v94
	v_add_f32_e32 v102, v94, v95
	v_sub_f32_e32 v107, v168, v183
	v_add_f32_e32 v121, v108, v109
	v_add_f32_e32 v168, v91, v185
	;; [unrolled: 1-line block ×5, first 2 shown]
	v_sub_f32_e32 v197, v100, v104
	v_add_f32_e32 v100, v120, v109
	v_fmac_f32_e32 v91, -0.5, v182
	v_add_f32_e32 v120, v92, v106
	v_add_f32_e32 v182, v93, v112
	v_sub_f32_e32 v186, v189, v191
	v_add_f32_e32 v188, v97, v189
	v_add_f32_e32 v189, v189, v191
	v_sub_f32_e32 v194, v193, v195
	v_add_f32_e32 v196, v99, v193
	v_add_f32_e32 v193, v193, v195
	;; [unrolled: 1-line block ×3, first 2 shown]
	v_fma_f32 v88, -0.5, v102, v88
	s_waitcnt vmcnt(0)
	v_mul_f32_e32 v198, v117, v61
	v_mul_f32_e32 v199, v116, v61
	;; [unrolled: 1-line block ×4, first 2 shown]
	v_add_f32_e32 v95, v103, v183
	v_fma_f32 v116, v116, v60, -v198
	v_fmac_f32_e32 v199, v117, v60
	v_fma_f32 v118, v118, v62, -v200
	v_fmac_f32_e32 v201, v119, v62
	v_fma_f32 v89, -0.5, v105, v89
	v_fma_f32 v90, -0.5, v121, v90
	v_add_f32_e32 v101, v168, v187
	v_fma_f32 v96, -0.5, v185, v96
	v_add_f32_e32 v121, v106, v114
	v_sub_f32_e32 v168, v112, v115
	v_add_f32_e32 v183, v112, v115
	v_sub_f32_e32 v185, v106, v114
	v_add_f32_e32 v114, v120, v114
	v_add_f32_e32 v115, v182, v115
	;; [unrolled: 1-line block ×5, first 2 shown]
	v_fma_f32 v97, -0.5, v189, v97
	v_fma_f32 v98, -0.5, v192, v98
	v_fmac_f32_e32 v99, -0.5, v193
	v_fmamk_f32 v106, v107, 0x3f5db3d7, v88
	v_fmac_f32_e32 v88, 0xbf5db3d7, v107
	v_fmamk_f32 v107, v113, 0xbf5db3d7, v89
	v_fmamk_f32 v108, v167, 0x3f5db3d7, v90
	v_fmac_f32_e32 v90, 0xbf5db3d7, v167
	v_fma_f32 v92, -0.5, v121, v92
	v_fmac_f32_e32 v93, -0.5, v183
	v_add_f32_e32 v119, v84, v116
	v_sub_f32_e32 v121, v199, v201
	v_add_f32_e32 v167, v85, v199
	v_sub_f32_e32 v183, v116, v118
	v_fmac_f32_e32 v84, -0.5, v120
	v_fmac_f32_e32 v85, -0.5, v182
	v_fmac_f32_e32 v89, 0x3f5db3d7, v113
	v_fmamk_f32 v109, v184, 0xbf5db3d7, v91
	v_fmac_f32_e32 v91, 0x3f5db3d7, v184
	v_add_f32_e32 v103, v188, v191
	v_add_f32_e32 v104, v110, v104
	;; [unrolled: 1-line block ×3, first 2 shown]
	v_fmamk_f32 v110, v186, 0x3f5db3d7, v96
	v_fmac_f32_e32 v96, 0xbf5db3d7, v186
	v_fmamk_f32 v111, v190, 0xbf5db3d7, v97
	v_fmac_f32_e32 v97, 0x3f5db3d7, v190
	v_fmamk_f32 v112, v194, 0x3f5db3d7, v98
	v_fmamk_f32 v113, v197, 0xbf5db3d7, v99
	ds_write_b64 v172, v[106:107] offset:3200
	ds_write_b64 v172, v[88:89] offset:6400
	ds_write2_b64 v169, v[94:95], v[100:101] offset1:75
	ds_write_b64 v172, v[108:109] offset:3800
	ds_write_b64 v172, v[90:91] offset:7000
	;; [unrolled: 1-line block ×5, first 2 shown]
	v_add_f32_e32 v88, v119, v118
	v_add_f32_e32 v89, v167, v201
	v_fmamk_f32 v90, v121, 0x3f5db3d7, v84
	v_fmac_f32_e32 v84, 0xbf5db3d7, v121
	v_fmamk_f32 v91, v183, 0xbf5db3d7, v85
	v_fmac_f32_e32 v85, 0x3f5db3d7, v183
	v_fmac_f32_e32 v98, 0xbf5db3d7, v194
	;; [unrolled: 1-line block ×3, first 2 shown]
	v_fmamk_f32 v116, v168, 0x3f5db3d7, v92
	v_fmamk_f32 v117, v185, 0xbf5db3d7, v93
	v_fmac_f32_e32 v92, 0xbf5db3d7, v168
	v_fmac_f32_e32 v93, 0x3f5db3d7, v185
	ds_write_b64 v172, v[104:105] offset:1800
	ds_write_b64 v169, v[112:113] offset:5000
	;; [unrolled: 1-line block ×6, first 2 shown]
	s_and_saveexec_b32 s1, s0
	s_cbranch_execz .LBB0_15
; %bb.14:
	ds_write_b64 v172, v[88:89] offset:3000
	ds_write_b64 v172, v[90:91] offset:6200
	;; [unrolled: 1-line block ×3, first 2 shown]
.LBB0_15:
	s_or_b32 exec_lo, exec_lo, s1
	v_add_co_u32 v92, s1, 0x2580, v124
	v_add_co_ci_u32_e64 v93, s1, 0, v125, s1
	v_add_co_u32 v94, s1, 0x3000, v124
	v_add_co_ci_u32_e64 v95, s1, 0, v125, s1
	;; [unrolled: 2-line block ×5, first 2 shown]
	s_waitcnt lgkmcnt(0)
	s_barrier
	buffer_gl0_inv
	s_clause 0xb
	global_load_dwordx2 v[104:105], v[126:127], off offset:1408
	global_load_dwordx2 v[108:109], v[92:93], off offset:1920
	;; [unrolled: 1-line block ×12, first 2 shown]
	v_add_co_u32 v94, s1, 0x4800, v124
	v_add_co_ci_u32_e64 v95, s1, 0, v125, s1
	s_clause 0x2
	global_load_dwordx2 v[210:211], v[96:97], off offset:304
	global_load_dwordx2 v[212:213], v[98:99], off offset:176
	;; [unrolled: 1-line block ×3, first 2 shown]
	ds_read2_b64 v[94:97], v169 offset1:75
	v_add_nc_u32_e32 v103, 0xc00, v169
	v_add_nc_u32_e32 v102, 0x1000, v169
	;; [unrolled: 1-line block ×5, first 2 shown]
	ds_read2_b64 v[98:101], v169 offset0:150 offset1:240
	ds_read2_b64 v[111:114], v103 offset0:96 offset1:171
	;; [unrolled: 1-line block ×6, first 2 shown]
	ds_read_b64 v[218:219], v169 offset:8880
	s_waitcnt vmcnt(10) lgkmcnt(3)
	v_mul_f32_e32 v220, v183, v195
	s_waitcnt vmcnt(9)
	v_mul_f32_e32 v221, v97, v197
	s_waitcnt vmcnt(8) lgkmcnt(2)
	v_mul_f32_e32 v222, v187, v199
	v_mul_f32_e32 v121, v95, v105
	;; [unrolled: 1-line block ×4, first 2 shown]
	s_waitcnt vmcnt(7)
	v_mul_f32_e32 v223, v114, v201
	s_waitcnt vmcnt(5)
	v_mul_f32_e32 v225, v185, v205
	v_fma_f32 v216, v94, v104, -v121
	v_fmac_f32_e32 v217, v95, v104
	v_mul_f32_e32 v94, v101, v109
	v_mul_f32_e32 v95, v100, v109
	;; [unrolled: 1-line block ×10, first 2 shown]
	s_waitcnt lgkmcnt(1)
	v_mul_f32_e32 v224, v191, v203
	v_mul_f32_e32 v199, v190, v203
	s_waitcnt vmcnt(3)
	v_mul_f32_e32 v226, v99, v209
	v_mul_f32_e32 v203, v98, v209
	v_mul_f32_e32 v227, v189, v207
	v_mul_f32_e32 v205, v188, v207
	s_waitcnt vmcnt(2)
	v_mul_f32_e32 v228, v116, v211
	v_mul_f32_e32 v207, v115, v211
	s_waitcnt vmcnt(1)
	v_mul_f32_e32 v229, v193, v213
	v_mul_f32_e32 v209, v192, v213
	s_waitcnt vmcnt(0) lgkmcnt(0)
	v_mul_f32_e32 v213, v219, v215
	v_mul_f32_e32 v211, v218, v215
	v_fma_f32 v94, v100, v108, -v94
	v_fmac_f32_e32 v95, v101, v108
	v_fma_f32 v108, v117, v167, -v121
	v_fmac_f32_e32 v109, v118, v167
	v_fma_f32 v167, v96, v196, -v221
	v_fmac_f32_e32 v168, v97, v196
	v_fma_f32 v104, v111, v119, -v104
	v_fmac_f32_e32 v105, v112, v119
	v_fma_f32 v196, v113, v200, -v223
	v_fmac_f32_e32 v197, v114, v200
	v_fma_f32 v119, v182, v194, -v220
	v_fmac_f32_e32 v120, v183, v194
	v_fma_f32 v200, v184, v204, -v225
	v_fmac_f32_e32 v201, v185, v204
	v_fma_f32 v194, v186, v198, -v222
	v_fmac_f32_e32 v195, v187, v198
	v_fma_f32 v198, v190, v202, -v224
	v_fmac_f32_e32 v199, v191, v202
	v_fma_f32 v202, v98, v208, -v226
	v_fmac_f32_e32 v203, v99, v208
	v_fma_f32 v204, v188, v206, -v227
	v_fmac_f32_e32 v205, v189, v206
	v_fma_f32 v206, v115, v210, -v228
	v_fmac_f32_e32 v207, v116, v210
	v_fma_f32 v208, v192, v212, -v229
	v_fmac_f32_e32 v209, v193, v212
	v_fma_f32 v210, v218, v214, -v213
	v_fmac_f32_e32 v211, v219, v214
	ds_write2_b64 v169, v[216:217], v[167:168] offset1:75
	ds_write2_b64 v103, v[104:105], v[196:197] offset0:96 offset1:171
	ds_write2_b64 v107, v[119:120], v[200:201] offset0:64 offset1:139
	ds_write2_b64 v169, v[202:203], v[94:95] offset0:150 offset1:240
	ds_write2_b64 v106, v[194:195], v[204:205] offset0:59 offset1:134
	ds_write2_b64 v102, v[206:207], v[108:109] offset0:118 offset1:208
	ds_write2_b64 v110, v[198:199], v[208:209] offset0:27 offset1:102
	ds_write_b64 v169, v[210:211] offset:8880
	s_and_saveexec_b32 s2, vcc_lo
	s_cbranch_execz .LBB0_17
; %bb.16:
	global_load_dwordx2 v[94:95], v[92:93], off offset:1800
	v_add_co_u32 v96, s1, 0x800, v92
	v_add_co_ci_u32_e64 v97, s1, 0, v93, s1
	v_add_co_u32 v98, s1, 0x1000, v92
	v_add_co_ci_u32_e64 v99, s1, 0, v93, s1
	global_load_dwordx2 v[104:105], v[96:97], off offset:1672
	v_add_co_u32 v100, s1, 0x1800, v92
	v_add_co_ci_u32_e64 v101, s1, 0, v93, s1
	v_add_co_u32 v92, s1, 0x2000, v92
	v_add_co_ci_u32_e64 v93, s1, 0, v93, s1
	s_clause 0x2
	global_load_dwordx2 v[108:109], v[98:99], off offset:1544
	global_load_dwordx2 v[100:101], v[100:101], off offset:1416
	;; [unrolled: 1-line block ×3, first 2 shown]
	ds_read_b64 v[92:93], v172 offset:1800
	v_add_nc_u32_e32 v114, 0xe80, v169
	v_add_nc_u32_e32 v115, 0x1d80, v169
	s_waitcnt vmcnt(4) lgkmcnt(0)
	v_mul_f32_e32 v97, v93, v95
	v_mul_f32_e32 v96, v92, v95
	v_fma_f32 v95, v92, v94, -v97
	v_fmac_f32_e32 v96, v93, v94
	ds_write_b64 v172, v[95:96] offset:1800
	ds_read2_b64 v[92:95], v114 offset0:1 offset1:241
	ds_read2_b64 v[96:99], v115 offset0:1 offset1:241
	s_waitcnt vmcnt(3) lgkmcnt(1)
	v_mul_f32_e32 v116, v93, v105
	v_mul_f32_e32 v113, v92, v105
	s_waitcnt vmcnt(2)
	v_mul_f32_e32 v117, v95, v109
	v_mul_f32_e32 v105, v94, v109
	s_waitcnt vmcnt(1) lgkmcnt(0)
	v_mul_f32_e32 v118, v97, v101
	v_mul_f32_e32 v109, v96, v101
	s_waitcnt vmcnt(0)
	v_mul_f32_e32 v119, v99, v112
	v_mul_f32_e32 v101, v98, v112
	v_fma_f32 v112, v92, v104, -v116
	v_fmac_f32_e32 v113, v93, v104
	v_fma_f32 v104, v94, v108, -v117
	v_fmac_f32_e32 v105, v95, v108
	;; [unrolled: 2-line block ×4, first 2 shown]
	ds_write2_b64 v114, v[112:113], v[104:105] offset0:1 offset1:241
	ds_write2_b64 v115, v[108:109], v[100:101] offset0:1 offset1:241
.LBB0_17:
	s_or_b32 exec_lo, exec_lo, s2
	s_waitcnt lgkmcnt(0)
	s_barrier
	buffer_gl0_inv
	ds_read2_b64 v[94:97], v169 offset1:75
	ds_read2_b64 v[98:101], v169 offset0:150 offset1:240
	ds_read2_b64 v[114:117], v103 offset0:96 offset1:171
	;; [unrolled: 1-line block ×6, first 2 shown]
	ds_read_b64 v[92:93], v169 offset:8880
	s_and_saveexec_b32 s1, vcc_lo
	s_cbranch_execz .LBB0_19
; %bb.18:
	v_add_nc_u32_e32 v84, 0x700, v172
	v_add_nc_u32_e32 v85, 0x1600, v172
	ds_read2_b64 v[88:91], v84 offset0:1 offset1:241
	ds_read2_b64 v[84:87], v85 offset0:1 offset1:241
	ds_read_b64 v[122:123], v172 offset:9480
.LBB0_19:
	s_or_b32 exec_lo, exec_lo, s1
	s_waitcnt lgkmcnt(4)
	v_add_f32_e32 v167, v114, v104
	v_add_f32_e32 v168, v94, v100
	v_sub_f32_e32 v186, v100, v114
	s_waitcnt lgkmcnt(3)
	v_add_f32_e32 v187, v100, v118
	v_sub_f32_e32 v185, v101, v119
	v_fma_f32 v182, -0.5, v167, v94
	v_sub_f32_e32 v167, v118, v104
	v_add_f32_e32 v168, v168, v114
	v_sub_f32_e32 v183, v115, v105
	v_sub_f32_e32 v189, v114, v100
	v_fmamk_f32 v184, v185, 0xbf737871, v182
	v_add_f32_e32 v167, v186, v167
	v_fma_f32 v186, -0.5, v187, v94
	v_add_f32_e32 v94, v168, v104
	v_fmac_f32_e32 v182, 0x3f737871, v185
	v_add_f32_e32 v187, v115, v105
	v_fmac_f32_e32 v184, 0xbf167918, v183
	v_sub_f32_e32 v168, v104, v118
	v_add_f32_e32 v190, v94, v118
	v_add_f32_e32 v94, v95, v101
	v_fmamk_f32 v188, v183, 0x3f737871, v186
	v_fmac_f32_e32 v182, 0x3f167918, v183
	v_fmac_f32_e32 v186, 0xbf737871, v183
	v_fma_f32 v183, -0.5, v187, v95
	v_add_f32_e32 v94, v94, v115
	v_sub_f32_e32 v100, v100, v118
	v_add_f32_e32 v118, v101, v119
	v_fmac_f32_e32 v184, 0x3e9e377a, v167
	v_fmac_f32_e32 v188, 0xbf167918, v185
	;; [unrolled: 1-line block ×4, first 2 shown]
	v_add_f32_e32 v94, v94, v105
	v_fmamk_f32 v185, v100, 0x3f737871, v183
	v_sub_f32_e32 v114, v114, v104
	v_sub_f32_e32 v104, v101, v115
	v_sub_f32_e32 v167, v119, v105
	v_fma_f32 v187, -0.5, v118, v95
	v_fmac_f32_e32 v183, 0xbf737871, v100
	v_sub_f32_e32 v95, v115, v101
	v_sub_f32_e32 v101, v105, v119
	v_add_f32_e32 v191, v94, v119
	v_fmac_f32_e32 v185, 0x3f167918, v114
	v_add_f32_e32 v94, v104, v167
	v_fmac_f32_e32 v183, 0xbf167918, v114
	v_add_f32_e32 v95, v95, v101
	s_waitcnt lgkmcnt(2)
	v_add_f32_e32 v101, v96, v106
	v_add_f32_e32 v168, v189, v168
	v_fmamk_f32 v189, v114, 0xbf737871, v187
	v_fmac_f32_e32 v185, 0x3e9e377a, v94
	s_waitcnt lgkmcnt(1)
	v_add_f32_e32 v104, v116, v110
	v_fmac_f32_e32 v183, 0x3e9e377a, v94
	v_fmac_f32_e32 v187, 0x3f737871, v114
	v_add_f32_e32 v94, v101, v116
	v_fmac_f32_e32 v189, 0x3f167918, v100
	v_fma_f32 v104, -0.5, v104, v96
	v_sub_f32_e32 v115, v107, v121
	v_sub_f32_e32 v105, v106, v116
	;; [unrolled: 1-line block ×3, first 2 shown]
	v_fmac_f32_e32 v187, 0xbf167918, v100
	v_add_f32_e32 v94, v94, v110
	v_fmac_f32_e32 v189, 0x3e9e377a, v95
	v_fmamk_f32 v114, v115, 0xbf737871, v104
	v_sub_f32_e32 v101, v117, v111
	v_add_f32_e32 v119, v106, v120
	v_add_f32_e32 v100, v105, v118
	v_fmac_f32_e32 v187, 0x3e9e377a, v95
	v_add_f32_e32 v118, v94, v120
	v_fmac_f32_e32 v104, 0x3f737871, v115
	v_sub_f32_e32 v94, v116, v106
	v_sub_f32_e32 v95, v110, v120
	v_add_f32_e32 v105, v97, v107
	v_fmac_f32_e32 v114, 0xbf167918, v101
	v_fma_f32 v96, -0.5, v119, v96
	v_fmac_f32_e32 v104, 0x3f167918, v101
	v_add_f32_e32 v119, v117, v111
	v_add_f32_e32 v94, v94, v95
	;; [unrolled: 1-line block ×3, first 2 shown]
	v_fmac_f32_e32 v114, 0x3e9e377a, v100
	v_fmamk_f32 v192, v101, 0x3f737871, v96
	v_fmac_f32_e32 v96, 0xbf737871, v101
	v_fma_f32 v105, -0.5, v119, v97
	v_sub_f32_e32 v101, v106, v120
	v_fmac_f32_e32 v104, 0x3e9e377a, v100
	v_add_f32_e32 v95, v95, v111
	v_add_f32_e32 v100, v107, v121
	v_fmac_f32_e32 v192, 0xbf167918, v115
	v_fmac_f32_e32 v96, 0x3f167918, v115
	v_fmamk_f32 v115, v101, 0x3f737871, v105
	v_sub_f32_e32 v110, v116, v110
	v_sub_f32_e32 v106, v107, v117
	;; [unrolled: 1-line block ×3, first 2 shown]
	v_fmac_f32_e32 v97, -0.5, v100
	v_add_f32_e32 v119, v95, v121
	v_fmac_f32_e32 v105, 0xbf737871, v101
	v_sub_f32_e32 v95, v117, v107
	v_sub_f32_e32 v100, v111, v121
	v_fmac_f32_e32 v192, 0x3e9e377a, v94
	v_fmac_f32_e32 v96, 0x3e9e377a, v94
	;; [unrolled: 1-line block ×3, first 2 shown]
	v_add_f32_e32 v94, v106, v116
	v_fmac_f32_e32 v105, 0xbf167918, v110
	v_add_f32_e32 v95, v95, v100
	v_add_f32_e32 v100, v98, v108
	v_fmamk_f32 v193, v110, 0xbf737871, v97
	v_fmac_f32_e32 v115, 0x3e9e377a, v94
	v_fmac_f32_e32 v105, 0x3e9e377a, v94
	;; [unrolled: 1-line block ×3, first 2 shown]
	v_add_f32_e32 v94, v100, v102
	v_add_f32_e32 v106, v102, v112
	v_fmac_f32_e32 v193, 0x3f167918, v101
	v_sub_f32_e32 v107, v108, v102
	s_waitcnt lgkmcnt(0)
	v_sub_f32_e32 v116, v92, v112
	v_fmac_f32_e32 v97, 0xbf167918, v101
	v_add_f32_e32 v94, v94, v112
	v_fma_f32 v106, -0.5, v106, v98
	v_sub_f32_e32 v111, v109, v93
	v_fmac_f32_e32 v193, 0x3e9e377a, v95
	v_add_f32_e32 v117, v108, v92
	v_add_f32_e32 v101, v107, v116
	v_fmac_f32_e32 v97, 0x3e9e377a, v95
	v_add_f32_e32 v116, v94, v92
	v_sub_f32_e32 v94, v102, v108
	v_sub_f32_e32 v95, v112, v92
	v_add_f32_e32 v107, v99, v109
	v_fmamk_f32 v110, v111, 0xbf737871, v106
	v_sub_f32_e32 v100, v103, v113
	v_fma_f32 v98, -0.5, v117, v98
	v_fmac_f32_e32 v106, 0x3f737871, v111
	v_add_f32_e32 v117, v103, v113
	v_add_f32_e32 v94, v94, v95
	;; [unrolled: 1-line block ×3, first 2 shown]
	v_fmac_f32_e32 v110, 0xbf167918, v100
	v_fmamk_f32 v120, v100, 0x3f737871, v98
	v_fmac_f32_e32 v106, 0x3f167918, v100
	v_fmac_f32_e32 v98, 0xbf737871, v100
	v_fma_f32 v107, -0.5, v117, v99
	v_sub_f32_e32 v92, v108, v92
	v_add_f32_e32 v95, v95, v113
	v_add_f32_e32 v100, v109, v93
	v_fmac_f32_e32 v110, 0x3e9e377a, v101
	v_fmac_f32_e32 v120, 0xbf167918, v111
	v_fmac_f32_e32 v106, 0x3e9e377a, v101
	v_fmac_f32_e32 v98, 0x3f167918, v111
	v_fmamk_f32 v111, v92, 0x3f737871, v107
	v_sub_f32_e32 v101, v102, v112
	v_sub_f32_e32 v102, v109, v103
	;; [unrolled: 1-line block ×3, first 2 shown]
	v_fmac_f32_e32 v99, -0.5, v100
	v_add_f32_e32 v117, v95, v93
	v_fmac_f32_e32 v107, 0xbf737871, v92
	v_sub_f32_e32 v95, v103, v109
	v_sub_f32_e32 v93, v113, v93
	v_add_f32_e32 v100, v84, v86
	v_fmac_f32_e32 v120, 0x3e9e377a, v94
	v_fmac_f32_e32 v98, 0x3e9e377a, v94
	;; [unrolled: 1-line block ×3, first 2 shown]
	v_add_f32_e32 v94, v102, v108
	v_fmamk_f32 v121, v101, 0xbf737871, v99
	v_fmac_f32_e32 v107, 0xbf167918, v101
	v_add_f32_e32 v93, v95, v93
	v_fmac_f32_e32 v99, 0x3f737871, v101
	v_add_f32_e32 v95, v88, v90
	v_fma_f32 v167, -0.5, v100, v88
	v_sub_f32_e32 v101, v91, v123
	v_fmac_f32_e32 v111, 0x3e9e377a, v94
	v_fmac_f32_e32 v121, 0x3f167918, v92
	v_fmac_f32_e32 v107, 0x3e9e377a, v94
	v_fmac_f32_e32 v99, 0xbf167918, v92
	v_add_f32_e32 v92, v95, v84
	v_fmamk_f32 v94, v101, 0xbf737871, v167
	v_sub_f32_e32 v95, v85, v87
	v_sub_f32_e32 v100, v90, v84
	;; [unrolled: 1-line block ×3, first 2 shown]
	v_fmac_f32_e32 v167, 0x3f737871, v101
	v_add_f32_e32 v103, v90, v122
	v_fmac_f32_e32 v121, 0x3e9e377a, v93
	v_fmac_f32_e32 v94, 0xbf167918, v95
	v_add_f32_e32 v100, v100, v102
	v_fmac_f32_e32 v167, 0x3f167918, v95
	v_fmac_f32_e32 v88, -0.5, v103
	v_fmac_f32_e32 v99, 0x3e9e377a, v93
	v_add_f32_e32 v93, v85, v87
	v_sub_f32_e32 v102, v84, v90
	v_sub_f32_e32 v103, v86, v122
	v_fmac_f32_e32 v188, 0x3e9e377a, v168
	v_fmac_f32_e32 v186, 0x3e9e377a, v168
	v_fmac_f32_e32 v94, 0x3e9e377a, v100
	v_fmac_f32_e32 v167, 0x3e9e377a, v100
	v_fmamk_f32 v100, v95, 0x3f737871, v88
	v_fmac_f32_e32 v88, 0xbf737871, v95
	v_add_f32_e32 v95, v89, v91
	v_fma_f32 v168, -0.5, v93, v89
	v_add_f32_e32 v93, v102, v103
	v_add_f32_e32 v102, v91, v123
	v_sub_f32_e32 v90, v90, v122
	v_fmac_f32_e32 v100, 0xbf167918, v101
	v_fmac_f32_e32 v88, 0x3f167918, v101
	v_add_f32_e32 v101, v95, v85
	v_sub_f32_e32 v84, v84, v86
	v_fmac_f32_e32 v89, -0.5, v102
	v_add_f32_e32 v92, v92, v86
	v_fmamk_f32 v95, v90, 0x3f737871, v168
	v_fmac_f32_e32 v100, 0x3e9e377a, v93
	v_fmac_f32_e32 v88, 0x3e9e377a, v93
	v_add_f32_e32 v86, v101, v87
	v_sub_f32_e32 v93, v91, v85
	v_sub_f32_e32 v102, v123, v87
	v_fmac_f32_e32 v168, 0xbf737871, v90
	v_fmamk_f32 v101, v84, 0xbf737871, v89
	v_sub_f32_e32 v85, v85, v91
	v_sub_f32_e32 v87, v87, v123
	v_fmac_f32_e32 v89, 0x3f737871, v84
	v_fmac_f32_e32 v95, 0x3f167918, v84
	v_add_f32_e32 v91, v93, v102
	v_fmac_f32_e32 v168, 0xbf167918, v84
	v_fmac_f32_e32 v101, 0x3f167918, v90
	v_add_f32_e32 v84, v85, v87
	v_fmac_f32_e32 v89, 0xbf167918, v90
	v_add_f32_e32 v92, v92, v122
	v_add_f32_e32 v93, v86, v123
	v_fmac_f32_e32 v95, 0x3e9e377a, v91
	v_fmac_f32_e32 v168, 0x3e9e377a, v91
	;; [unrolled: 1-line block ×4, first 2 shown]
	s_barrier
	buffer_gl0_inv
	ds_write2_b64 v178, v[190:191], v[184:185] offset1:1
	ds_write2_b64 v178, v[188:189], v[186:187] offset0:2 offset1:3
	ds_write_b64 v178, v[182:183] offset:32
	ds_write2_b64 v176, v[118:119], v[114:115] offset1:1
	ds_write2_b64 v176, v[192:193], v[96:97] offset0:2 offset1:3
	ds_write_b64 v176, v[104:105] offset:32
	;; [unrolled: 3-line block ×3, first 2 shown]
	s_and_saveexec_b32 s1, vcc_lo
	s_cbranch_execz .LBB0_21
; %bb.20:
	v_lshl_add_u32 v86, v179, 3, v171
	v_mov_b32_e32 v84, v88
	v_mov_b32_e32 v85, v89
	ds_write2_b64 v86, v[92:93], v[94:95] offset1:1
	ds_write2_b64 v86, v[100:101], v[84:85] offset0:2 offset1:3
	ds_write_b64 v86, v[167:168] offset:32
.LBB0_21:
	s_or_b32 exec_lo, exec_lo, s1
	v_add_nc_u32_e32 v90, 0xc00, v169
	v_add_nc_u32_e32 v91, 0x1000, v169
	;; [unrolled: 1-line block ×5, first 2 shown]
	s_waitcnt lgkmcnt(0)
	s_barrier
	buffer_gl0_inv
	ds_read2_b64 v[96:99], v169 offset1:75
	ds_read2_b64 v[84:87], v169 offset0:150 offset1:240
	ds_read2_b64 v[120:123], v90 offset0:96 offset1:171
	;; [unrolled: 1-line block ×6, first 2 shown]
	ds_read_b64 v[90:91], v169 offset:8880
	s_and_saveexec_b32 s1, vcc_lo
	s_cbranch_execz .LBB0_23
; %bb.22:
	v_add_nc_u32_e32 v88, 0x1600, v169
	ds_read2_b64 v[100:103], v88 offset0:1 offset1:241
	v_add_nc_u32_e32 v88, 0x700, v169
	ds_read_b64 v[167:168], v169 offset:9480
	ds_read2_b64 v[92:95], v88 offset0:1 offset1:241
	s_waitcnt lgkmcnt(2)
	v_mov_b32_e32 v88, v102
	v_mov_b32_e32 v89, v103
.LBB0_23:
	s_or_b32 exec_lo, exec_lo, s1
	s_waitcnt lgkmcnt(6)
	v_mul_f32_e32 v102, v29, v87
	v_mul_f32_e32 v29, v29, v86
	s_waitcnt lgkmcnt(5)
	v_mul_f32_e32 v103, v31, v121
	s_waitcnt lgkmcnt(0)
	s_barrier
	v_fmac_f32_e32 v102, v28, v86
	v_fma_f32 v28, v28, v87, -v29
	v_mul_f32_e32 v29, v31, v120
	v_mul_f32_e32 v31, v25, v107
	;; [unrolled: 1-line block ×5, first 2 shown]
	v_fmac_f32_e32 v103, v30, v120
	v_fmac_f32_e32 v31, v24, v106
	v_mul_f32_e32 v120, v17, v115
	v_fma_f32 v106, v26, v117, -v27
	v_mul_f32_e32 v117, v9, v109
	v_mul_f32_e32 v9, v9, v108
	;; [unrolled: 1-line block ×3, first 2 shown]
	v_fmac_f32_e32 v120, v16, v114
	v_fma_f32 v29, v30, v121, -v29
	v_fmac_f32_e32 v117, v8, v108
	v_mul_f32_e32 v108, v11, v119
	v_mul_f32_e32 v11, v11, v118
	v_fma_f32 v9, v8, v109, -v9
	v_mul_f32_e32 v8, v19, v104
	v_fma_f32 v30, v24, v107, -v25
	v_fmac_f32_e32 v108, v10, v118
	v_fma_f32 v10, v10, v119, -v11
	v_fma_f32 v11, v16, v115, -v17
	v_mul_f32_e32 v16, v19, v105
	v_mul_f32_e32 v17, v5, v111
	;; [unrolled: 1-line block ×5, first 2 shown]
	v_fmac_f32_e32 v16, v18, v104
	v_fma_f32 v18, v18, v105, -v8
	v_fmac_f32_e32 v17, v4, v110
	v_fma_f32 v109, v4, v111, -v5
	v_mul_f32_e32 v4, v13, v95
	v_mul_f32_e32 v8, v13, v94
	;; [unrolled: 1-line block ×4, first 2 shown]
	v_fmac_f32_e32 v19, v6, v90
	v_fma_f32 v15, v6, v91, -v7
	v_mul_f32_e32 v7, v1, v89
	v_fmac_f32_e32 v5, v14, v100
	v_fma_f32 v6, v14, v101, -v13
	v_mul_f32_e32 v13, v1, v88
	v_add_f32_e32 v14, v96, v102
	v_fmac_f32_e32 v87, v26, v116
	v_mul_f32_e32 v107, v21, v113
	v_mul_f32_e32 v21, v21, v112
	;; [unrolled: 1-line block ×4, first 2 shown]
	v_fmac_f32_e32 v7, v0, v88
	v_fma_f32 v0, v0, v89, -v13
	v_add_f32_e32 v13, v14, v103
	v_fmac_f32_e32 v107, v20, v112
	v_fma_f32 v112, v20, v113, -v21
	v_fma_f32 v113, v22, v123, -v23
	v_fmac_f32_e32 v4, v12, v94
	v_fma_f32 v8, v12, v95, -v8
	v_add_f32_e32 v12, v103, v31
	v_mul_f32_e32 v1, v3, v168
	v_sub_f32_e32 v21, v102, v103
	v_sub_f32_e32 v23, v87, v31
	v_add_f32_e32 v24, v102, v87
	v_mul_f32_e32 v3, v3, v167
	v_add_f32_e32 v13, v13, v31
	v_fma_f32 v20, -0.5, v12, v96
	v_sub_f32_e32 v12, v28, v106
	v_fmac_f32_e32 v1, v2, v167
	v_sub_f32_e32 v14, v29, v30
	v_add_f32_e32 v23, v21, v23
	v_fma_f32 v24, -0.5, v24, v96
	v_fma_f32 v2, v2, v168, -v3
	v_add_f32_e32 v26, v13, v87
	v_sub_f32_e32 v3, v103, v102
	v_sub_f32_e32 v13, v31, v87
	v_add_f32_e32 v21, v97, v28
	v_fmac_f32_e32 v116, v22, v122
	v_fmamk_f32 v22, v12, 0xbf737871, v20
	v_fmac_f32_e32 v20, 0x3f737871, v12
	v_fmamk_f32 v86, v14, 0x3f737871, v24
	v_add_f32_e32 v25, v29, v30
	v_add_f32_e32 v3, v3, v13
	v_fmac_f32_e32 v24, 0xbf737871, v14
	v_add_f32_e32 v13, v21, v29
	v_fmac_f32_e32 v22, 0xbf167918, v14
	v_fmac_f32_e32 v20, 0x3f167918, v14
	v_fmac_f32_e32 v86, 0xbf167918, v12
	v_fma_f32 v21, -0.5, v25, v97
	v_sub_f32_e32 v14, v102, v87
	v_fmac_f32_e32 v24, 0x3f167918, v12
	v_add_f32_e32 v12, v13, v30
	v_add_f32_e32 v13, v28, v106
	v_fmac_f32_e32 v22, 0x3e9e377a, v23
	v_fmac_f32_e32 v20, 0x3e9e377a, v23
	v_fmamk_f32 v23, v14, 0x3f737871, v21
	v_sub_f32_e32 v31, v103, v31
	v_sub_f32_e32 v87, v28, v29
	;; [unrolled: 1-line block ×3, first 2 shown]
	v_fma_f32 v25, -0.5, v13, v97
	v_add_f32_e32 v27, v12, v106
	v_fmac_f32_e32 v21, 0xbf737871, v14
	v_sub_f32_e32 v12, v29, v28
	v_sub_f32_e32 v13, v30, v106
	v_fmac_f32_e32 v86, 0x3e9e377a, v3
	v_fmac_f32_e32 v24, 0x3e9e377a, v3
	;; [unrolled: 1-line block ×3, first 2 shown]
	v_add_f32_e32 v3, v87, v88
	v_fmac_f32_e32 v21, 0xbf167918, v31
	v_add_f32_e32 v12, v12, v13
	v_add_f32_e32 v13, v98, v107
	v_fmamk_f32 v87, v31, 0xbf737871, v25
	v_fmac_f32_e32 v23, 0x3e9e377a, v3
	v_fmac_f32_e32 v21, 0x3e9e377a, v3
	;; [unrolled: 1-line block ×3, first 2 shown]
	v_add_f32_e32 v3, v13, v116
	v_add_f32_e32 v28, v116, v117
	v_fmac_f32_e32 v87, 0x3f167918, v14
	v_sub_f32_e32 v29, v107, v116
	v_sub_f32_e32 v30, v108, v117
	v_fmac_f32_e32 v25, 0xbf167918, v14
	v_add_f32_e32 v3, v3, v117
	v_fma_f32 v88, -0.5, v28, v98
	v_sub_f32_e32 v28, v112, v10
	v_fmac_f32_e32 v87, 0x3e9e377a, v12
	v_add_f32_e32 v31, v107, v108
	v_add_f32_e32 v14, v29, v30
	v_fmac_f32_e32 v25, 0x3e9e377a, v12
	v_add_f32_e32 v94, v3, v108
	v_sub_f32_e32 v3, v116, v107
	v_sub_f32_e32 v12, v117, v108
	v_add_f32_e32 v29, v99, v112
	v_fmamk_f32 v90, v28, 0xbf737871, v88
	v_sub_f32_e32 v13, v113, v9
	v_fma_f32 v98, -0.5, v31, v98
	v_fmac_f32_e32 v88, 0x3f737871, v28
	v_add_f32_e32 v30, v113, v9
	v_add_f32_e32 v3, v3, v12
	;; [unrolled: 1-line block ×3, first 2 shown]
	v_fmac_f32_e32 v90, 0xbf167918, v13
	v_fmamk_f32 v96, v13, 0x3f737871, v98
	v_fmac_f32_e32 v88, 0x3f167918, v13
	v_fmac_f32_e32 v98, 0xbf737871, v13
	v_fma_f32 v89, -0.5, v30, v99
	v_sub_f32_e32 v13, v107, v108
	v_add_f32_e32 v12, v12, v9
	v_fmac_f32_e32 v90, 0x3e9e377a, v14
	v_fmac_f32_e32 v96, 0xbf167918, v28
	;; [unrolled: 1-line block ×4, first 2 shown]
	v_fmamk_f32 v91, v13, 0x3f737871, v89
	v_add_f32_e32 v14, v112, v10
	v_sub_f32_e32 v28, v116, v117
	v_sub_f32_e32 v29, v112, v113
	;; [unrolled: 1-line block ×3, first 2 shown]
	v_add_f32_e32 v95, v12, v10
	v_fmac_f32_e32 v89, 0xbf737871, v13
	v_sub_f32_e32 v12, v113, v112
	v_sub_f32_e32 v9, v9, v10
	v_fmac_f32_e32 v96, 0x3e9e377a, v3
	v_fmac_f32_e32 v98, 0x3e9e377a, v3
	v_fmac_f32_e32 v99, -0.5, v14
	v_fmac_f32_e32 v91, 0x3f167918, v28
	v_add_f32_e32 v3, v29, v30
	v_fmac_f32_e32 v89, 0xbf167918, v28
	v_add_f32_e32 v10, v16, v17
	v_add_f32_e32 v9, v12, v9
	;; [unrolled: 1-line block ×3, first 2 shown]
	v_fmamk_f32 v97, v28, 0xbf737871, v99
	v_fmac_f32_e32 v91, 0x3e9e377a, v3
	v_fmac_f32_e32 v99, 0x3f737871, v28
	v_fma_f32 v100, -0.5, v10, v84
	v_sub_f32_e32 v10, v11, v15
	v_fmac_f32_e32 v89, 0x3e9e377a, v3
	v_add_f32_e32 v3, v12, v16
	v_add_f32_e32 v28, v120, v19
	v_fmac_f32_e32 v97, 0x3f167918, v13
	v_fmac_f32_e32 v99, 0xbf167918, v13
	v_fmamk_f32 v102, v10, 0xbf737871, v100
	v_sub_f32_e32 v12, v18, v109
	v_fmac_f32_e32 v100, 0x3f737871, v10
	v_add_f32_e32 v3, v3, v17
	v_fma_f32 v84, -0.5, v28, v84
	v_fmac_f32_e32 v97, 0x3e9e377a, v9
	v_sub_f32_e32 v13, v120, v16
	v_sub_f32_e32 v14, v19, v17
	v_fmac_f32_e32 v102, 0xbf167918, v12
	v_fmac_f32_e32 v100, 0x3f167918, v12
	;; [unrolled: 1-line block ×3, first 2 shown]
	v_add_f32_e32 v104, v3, v19
	v_fmamk_f32 v106, v12, 0x3f737871, v84
	v_sub_f32_e32 v3, v16, v120
	v_sub_f32_e32 v9, v17, v19
	v_fmac_f32_e32 v84, 0xbf737871, v12
	v_add_f32_e32 v12, v85, v11
	v_add_f32_e32 v13, v13, v14
	v_fmac_f32_e32 v106, 0xbf167918, v10
	v_add_f32_e32 v3, v3, v9
	v_fmac_f32_e32 v84, 0x3f167918, v10
	;; [unrolled: 2-line block ×3, first 2 shown]
	v_fmac_f32_e32 v100, 0x3e9e377a, v13
	v_add_f32_e32 v13, v18, v109
	v_fmac_f32_e32 v106, 0x3e9e377a, v3
	v_fmac_f32_e32 v84, 0x3e9e377a, v3
	v_add_f32_e32 v3, v9, v109
	v_add_f32_e32 v9, v11, v15
	v_fma_f32 v101, -0.5, v13, v85
	v_sub_f32_e32 v12, v120, v19
	v_sub_f32_e32 v13, v16, v17
	;; [unrolled: 1-line block ×4, first 2 shown]
	v_fmac_f32_e32 v85, -0.5, v9
	v_fmamk_f32 v103, v12, 0x3f737871, v101
	v_add_f32_e32 v105, v3, v15
	v_fmac_f32_e32 v101, 0xbf737871, v12
	v_add_f32_e32 v3, v10, v14
	v_fmamk_f32 v107, v13, 0xbf737871, v85
	v_sub_f32_e32 v9, v18, v11
	v_sub_f32_e32 v10, v109, v15
	v_fmac_f32_e32 v85, 0x3f737871, v13
	v_fmac_f32_e32 v103, 0x3f167918, v13
	;; [unrolled: 1-line block ×3, first 2 shown]
	v_add_f32_e32 v11, v5, v7
	v_fmac_f32_e32 v107, 0x3f167918, v12
	v_add_f32_e32 v108, v9, v10
	v_add_f32_e32 v9, v4, v1
	v_sub_f32_e32 v13, v4, v5
	v_sub_f32_e32 v14, v1, v7
	v_fmac_f32_e32 v85, 0xbf167918, v12
	v_add_f32_e32 v12, v6, v0
	v_add_f32_e32 v17, v8, v2
	v_fmac_f32_e32 v103, 0x3e9e377a, v3
	v_fmac_f32_e32 v101, 0x3e9e377a, v3
	v_fma_f32 v3, -0.5, v11, v92
	v_sub_f32_e32 v10, v8, v2
	v_sub_f32_e32 v11, v6, v0
	v_fma_f32 v9, -0.5, v9, v92
	v_add_f32_e32 v14, v13, v14
	v_fma_f32 v13, -0.5, v12, v93
	v_sub_f32_e32 v16, v4, v1
	v_sub_f32_e32 v15, v5, v7
	v_fma_f32 v17, -0.5, v17, v93
	v_fmamk_f32 v28, v10, 0xbf737871, v3
	v_fmamk_f32 v30, v11, 0x3f737871, v9
	v_sub_f32_e32 v12, v5, v4
	v_sub_f32_e32 v18, v7, v1
	v_fmamk_f32 v29, v16, 0x3f737871, v13
	v_sub_f32_e32 v19, v8, v6
	v_sub_f32_e32 v109, v2, v0
	;; [unrolled: 3-line block ×3, first 2 shown]
	v_fmac_f32_e32 v28, 0xbf167918, v11
	v_fmac_f32_e32 v30, 0xbf167918, v10
	v_add_f32_e32 v12, v12, v18
	v_fmac_f32_e32 v29, 0x3f167918, v15
	v_add_f32_e32 v19, v19, v109
	;; [unrolled: 2-line block ×3, first 2 shown]
	v_fmac_f32_e32 v28, 0x3e9e377a, v14
	v_fmac_f32_e32 v30, 0x3e9e377a, v12
	;; [unrolled: 1-line block ×6, first 2 shown]
	buffer_gl0_inv
	ds_write2_b64 v175, v[26:27], v[22:23] offset1:5
	ds_write2_b64 v175, v[86:87], v[24:25] offset0:10 offset1:15
	ds_write_b64 v175, v[20:21] offset:160
	ds_write2_b64 v174, v[94:95], v[90:91] offset1:5
	ds_write2_b64 v174, v[96:97], v[98:99] offset0:10 offset1:15
	ds_write_b64 v174, v[88:89] offset:160
	;; [unrolled: 3-line block ×3, first 2 shown]
	s_and_saveexec_b32 s1, vcc_lo
	s_cbranch_execz .LBB0_25
; %bb.24:
	v_mul_f32_e32 v22, 0x3f737871, v15
	v_mul_f32_e32 v23, 0x3f737871, v16
	;; [unrolled: 1-line block ×3, first 2 shown]
	v_add_f32_e32 v8, v93, v8
	v_mul_f32_e32 v21, 0x3f167918, v11
	v_add_f32_e32 v17, v22, v17
	v_mul_f32_e32 v11, 0x3f737871, v11
	v_mul_f32_e32 v20, 0x3f737871, v10
	v_add_f32_e32 v8, v8, v6
	v_mul_f32_e32 v10, 0x3f167918, v10
	v_sub_f32_e32 v16, v17, v16
	v_add_f32_e32 v17, v92, v4
	v_sub_f32_e32 v9, v9, v11
	v_mul_f32_e32 v15, 0x3f167918, v15
	v_sub_f32_e32 v13, v13, v23
	v_add_f32_e32 v3, v3, v20
	v_add_f32_e32 v5, v17, v5
	v_add_f32_e32 v0, v8, v0
	v_mul_f32_e32 v18, 0x3e9e377a, v18
	v_mul_f32_e32 v12, 0x3e9e377a, v12
	v_add_f32_e32 v8, v10, v9
	v_add_f32_e32 v5, v5, v7
	v_and_b32_e32 v7, 0xffff, v181
	v_mul_f32_e32 v14, 0x3e9e377a, v14
	v_mul_f32_e32 v19, 0x3e9e377a, v19
	v_sub_f32_e32 v13, v13, v15
	v_add_f32_e32 v9, v21, v3
	v_add_f32_e32 v2, v0, v2
	;; [unrolled: 1-line block ×3, first 2 shown]
	v_lshl_add_u32 v0, v7, 3, v171
	v_add_f32_e32 v4, v18, v16
	v_add_f32_e32 v3, v12, v8
	;; [unrolled: 1-line block ×4, first 2 shown]
	ds_write2_b64 v0, v[1:2], v[28:29] offset1:5
	ds_write2_b64 v0, v[30:31], v[3:4] offset0:10 offset1:15
	ds_write_b64 v0, v[5:6] offset:160
.LBB0_25:
	s_or_b32 exec_lo, exec_lo, s1
	s_waitcnt lgkmcnt(0)
	s_barrier
	buffer_gl0_inv
	ds_read2_b64 v[0:3], v169 offset1:75
	ds_read2_b64 v[4:7], v169 offset0:150 offset1:225
	v_add_nc_u32_e32 v88, 0x800, v169
	v_add_nc_u32_e32 v89, 0xc00, v169
	v_add_nc_u32_e32 v90, 0x1000, v169
	v_add_nc_u32_e32 v20, 0x1400, v169
	v_add_nc_u32_e32 v91, 0x1800, v169
	ds_read2_b64 v[8:11], v88 offset0:44 offset1:119
	v_add_nc_u32_e32 v84, 0x2000, v169
	ds_read2_b64 v[12:15], v89 offset0:66 offset1:141
	ds_read2_b64 v[16:19], v90 offset0:88 offset1:163
	;; [unrolled: 1-line block ×5, first 2 shown]
	s_waitcnt lgkmcnt(0)
	s_barrier
	buffer_gl0_inv
	v_mul_f32_e32 v92, v57, v3
	v_mul_f32_e32 v93, v59, v5
	;; [unrolled: 1-line block ×6, first 2 shown]
	v_fmac_f32_e32 v93, v58, v4
	v_fmac_f32_e32 v94, v48, v6
	v_mul_f32_e32 v4, v51, v9
	v_fma_f32 v6, v48, v7, -v49
	v_mul_f32_e32 v7, v41, v11
	v_fmac_f32_e32 v92, v56, v2
	v_fma_f32 v2, v56, v3, -v57
	v_fma_f32 v3, v58, v5, -v59
	v_mul_f32_e32 v5, v51, v8
	v_mul_f32_e32 v41, v41, v10
	v_fmac_f32_e32 v4, v50, v8
	v_mul_f32_e32 v8, v43, v13
	v_fmac_f32_e32 v7, v40, v10
	v_mul_f32_e32 v10, v43, v12
	v_fma_f32 v5, v50, v9, -v5
	v_fma_f32 v9, v40, v11, -v41
	v_fmac_f32_e32 v8, v42, v12
	v_mul_f32_e32 v12, v33, v14
	v_fma_f32 v10, v42, v13, -v10
	v_mul_f32_e32 v13, v35, v16
	v_mul_f32_e32 v11, v33, v15
	;; [unrolled: 1-line block ×3, first 2 shown]
	v_fma_f32 v12, v32, v15, -v12
	v_mul_f32_e32 v15, v53, v18
	v_fma_f32 v13, v34, v17, -v13
	v_mul_f32_e32 v17, v55, v20
	v_fmac_f32_e32 v11, v32, v14
	v_fmac_f32_e32 v33, v34, v16
	v_mul_f32_e32 v14, v53, v19
	v_mul_f32_e32 v16, v55, v21
	v_fma_f32 v15, v52, v19, -v15
	v_fma_f32 v17, v54, v21, -v17
	v_mul_f32_e32 v19, v45, v22
	v_mul_f32_e32 v21, v47, v24
	v_fmac_f32_e32 v14, v52, v18
	v_mul_f32_e32 v18, v45, v23
	v_fmac_f32_e32 v16, v54, v20
	v_mul_f32_e32 v20, v47, v25
	v_fma_f32 v19, v44, v23, -v19
	v_mul_f32_e32 v23, v37, v26
	v_fma_f32 v21, v46, v25, -v21
	v_mul_f32_e32 v25, v39, v84
	v_fmac_f32_e32 v18, v44, v22
	v_mul_f32_e32 v22, v37, v27
	v_fmac_f32_e32 v20, v46, v24
	v_mul_f32_e32 v24, v39, v85
	v_fma_f32 v23, v36, v27, -v23
	v_mul_f32_e32 v27, v166, v86
	v_fma_f32 v25, v38, v85, -v25
	v_fmac_f32_e32 v22, v36, v26
	v_mul_f32_e32 v26, v166, v87
	v_fmac_f32_e32 v24, v38, v84
	v_fma_f32 v27, v165, v87, -v27
	v_sub_f32_e32 v13, v1, v13
	v_sub_f32_e32 v21, v5, v21
	v_sub_f32_e32 v17, v3, v17
	v_sub_f32_e32 v25, v10, v25
	v_sub_f32_e32 v32, v0, v33
	v_fmac_f32_e32 v26, v165, v86
	v_sub_f32_e32 v20, v4, v20
	v_sub_f32_e32 v16, v93, v16
	v_fma_f32 v1, v1, 2.0, -v13
	v_fma_f32 v5, v5, 2.0, -v21
	v_sub_f32_e32 v24, v8, v24
	v_fma_f32 v3, v3, 2.0, -v17
	v_sub_f32_e32 v14, v92, v14
	;; [unrolled: 2-line block ×3, first 2 shown]
	v_sub_f32_e32 v18, v94, v18
	v_sub_f32_e32 v27, v12, v27
	v_fma_f32 v4, v4, 2.0, -v20
	v_sub_f32_e32 v15, v2, v15
	v_fma_f32 v8, v8, 2.0, -v24
	v_sub_f32_e32 v22, v7, v22
	v_sub_f32_e32 v19, v6, v19
	;; [unrolled: 1-line block ×3, first 2 shown]
	v_fma_f32 v9, v9, 2.0, -v23
	v_sub_f32_e32 v5, v1, v5
	v_fma_f32 v12, v12, 2.0, -v27
	v_add_f32_e32 v21, v32, v21
	v_sub_f32_e32 v20, v13, v20
	v_sub_f32_e32 v10, v3, v10
	v_add_f32_e32 v25, v16, v25
	v_sub_f32_e32 v24, v17, v24
	v_add_f32_e32 v23, v14, v23
	v_add_f32_e32 v27, v18, v27
	v_fma_f32 v0, v0, 2.0, -v32
	v_fma_f32 v33, v93, 2.0, -v16
	;; [unrolled: 1-line block ×12, first 2 shown]
	v_sub_f32_e32 v22, v15, v22
	v_fma_f32 v14, v14, 2.0, -v23
	v_sub_f32_e32 v26, v19, v26
	v_fma_f32 v18, v18, 2.0, -v27
	v_fmamk_f32 v42, v24, 0x3f3504f3, v20
	v_sub_f32_e32 v4, v0, v4
	v_sub_f32_e32 v8, v33, v8
	v_fma_f32 v13, v13, 2.0, -v20
	v_sub_f32_e32 v7, v34, v7
	v_sub_f32_e32 v9, v2, v9
	v_fma_f32 v17, v17, 2.0, -v24
	;; [unrolled: 3-line block ×3, first 2 shown]
	v_fmamk_f32 v36, v16, 0xbf3504f3, v32
	v_sub_f32_e32 v37, v1, v3
	v_fma_f32 v3, v19, 2.0, -v26
	v_fmamk_f32 v39, v25, 0x3f3504f3, v21
	v_fmac_f32_e32 v42, 0xbf3504f3, v25
	v_fmamk_f32 v25, v18, 0xbf3504f3, v14
	v_fma_f32 v0, v0, 2.0, -v4
	v_fma_f32 v33, v33, 2.0, -v8
	;; [unrolled: 1-line block ×6, first 2 shown]
	v_fmamk_f32 v38, v17, 0xbf3504f3, v13
	v_fmac_f32_e32 v36, 0x3f3504f3, v17
	v_fmamk_f32 v44, v3, 0xbf3504f3, v15
	v_fmac_f32_e32 v25, 0x3f3504f3, v3
	v_sub_f32_e32 v33, v0, v33
	v_fmac_f32_e32 v38, 0xbf3504f3, v16
	v_fma_f32 v16, v32, 2.0, -v36
	v_add_f32_e32 v40, v4, v10
	v_sub_f32_e32 v41, v5, v8
	v_sub_f32_e32 v35, v34, v35
	;; [unrolled: 1-line block ×3, first 2 shown]
	v_fmac_f32_e32 v44, 0xbf3504f3, v18
	v_fma_f32 v8, v14, 2.0, -v25
	v_add_f32_e32 v45, v7, v12
	v_fmamk_f32 v47, v26, 0x3f3504f3, v22
	v_fma_f32 v17, v0, 2.0, -v33
	v_fma_f32 v19, v1, 2.0, -v37
	;; [unrolled: 1-line block ×3, first 2 shown]
	v_fmac_f32_e32 v39, 0x3f3504f3, v24
	v_fma_f32 v24, v4, 2.0, -v40
	v_fma_f32 v0, v34, 2.0, -v35
	;; [unrolled: 1-line block ×3, first 2 shown]
	v_fmamk_f32 v34, v27, 0x3f3504f3, v23
	v_sub_f32_e32 v46, v9, v11
	v_fma_f32 v6, v15, 2.0, -v44
	v_fma_f32 v11, v7, 2.0, -v45
	v_fmac_f32_e32 v47, 0xbf3504f3, v27
	v_fmamk_f32 v2, v8, 0xbf6c835e, v16
	v_fma_f32 v32, v5, 2.0, -v41
	v_fma_f32 v20, v20, 2.0, -v42
	v_fmac_f32_e32 v34, 0x3f3504f3, v26
	v_fma_f32 v9, v9, 2.0, -v46
	v_fma_f32 v12, v22, 2.0, -v47
	v_fmamk_f32 v3, v6, 0xbf6c835e, v13
	v_fmac_f32_e32 v2, 0x3ec3ef15, v6
	v_fmamk_f32 v6, v11, 0xbf3504f3, v24
	v_fma_f32 v14, v23, 2.0, -v34
	v_fmamk_f32 v7, v9, 0xbf3504f3, v32
	v_fma_f32 v21, v21, 2.0, -v39
	v_sub_f32_e32 v1, v19, v1
	v_fmac_f32_e32 v6, 0x3f3504f3, v9
	v_fmamk_f32 v9, v12, 0xbec3ef15, v20
	v_fmac_f32_e32 v3, 0xbec3ef15, v8
	v_fma_f32 v10, v16, 2.0, -v2
	v_fmac_f32_e32 v7, 0xbf3504f3, v11
	v_add_f32_e32 v16, v33, v43
	v_fmac_f32_e32 v9, 0xbf6c835e, v14
	v_fmamk_f32 v8, v14, 0xbec3ef15, v21
	v_sub_f32_e32 v0, v17, v0
	v_fma_f32 v5, v19, 2.0, -v1
	v_fmamk_f32 v18, v25, 0x3ec3ef15, v36
	v_fmamk_f32 v19, v44, 0x3ec3ef15, v38
	v_fma_f32 v11, v13, 2.0, -v3
	v_fma_f32 v13, v32, 2.0, -v7
	v_fma_f32 v15, v20, 2.0, -v9
	v_fma_f32 v20, v33, 2.0, -v16
	v_fmamk_f32 v22, v45, 0x3f3504f3, v40
	v_fmamk_f32 v23, v46, 0x3f3504f3, v41
	;; [unrolled: 1-line block ×4, first 2 shown]
	v_fmac_f32_e32 v8, 0x3f6c835e, v12
	v_fma_f32 v4, v17, 2.0, -v0
	v_sub_f32_e32 v17, v37, v35
	v_fmac_f32_e32 v18, 0x3f6c835e, v44
	v_fmac_f32_e32 v19, 0xbf6c835e, v25
	;; [unrolled: 1-line block ×6, first 2 shown]
	v_fma_f32 v12, v24, 2.0, -v6
	v_fma_f32 v14, v21, 2.0, -v8
	;; [unrolled: 1-line block ×9, first 2 shown]
	ds_write2_b64 v180, v[4:5], v[10:11] offset1:25
	ds_write2_b64 v180, v[12:13], v[14:15] offset0:50 offset1:75
	v_add_nc_u32_e32 v4, 0x400, v180
	v_add_nc_u32_e32 v5, 0x800, v180
	;; [unrolled: 1-line block ×3, first 2 shown]
	ds_write2_b64 v180, v[20:21], v[24:25] offset0:100 offset1:125
	ds_write2_b64 v180, v[26:27], v[34:35] offset0:150 offset1:175
	ds_write2_b64 v180, v[0:1], v[2:3] offset0:200 offset1:225
	ds_write2_b64 v4, v[6:7], v[8:9] offset0:122 offset1:147
	ds_write2_b64 v5, v[16:17], v[18:19] offset0:44 offset1:69
	ds_write2_b64 v5, v[22:23], v[32:33] offset0:94 offset1:119
	s_waitcnt lgkmcnt(0)
	s_barrier
	buffer_gl0_inv
	ds_read2_b64 v[4:7], v169 offset1:75
	ds_read2_b64 v[0:3], v88 offset0:44 offset1:144
	ds_read2_b64 v[24:27], v91 offset0:32 offset1:107
	;; [unrolled: 1-line block ×6, first 2 shown]
	ds_read_b64 v[34:35], v169 offset:8800
	v_add_nc_u32_e32 v38, 0x4b0, v169
	v_add_nc_u32_e32 v37, 0x708, v169
	;; [unrolled: 1-line block ×3, first 2 shown]
	s_and_saveexec_b32 s1, s0
	s_cbranch_execz .LBB0_27
; %bb.26:
	ds_read_b64 v[32:33], v169 offset:3000
	ds_read_b64 v[28:29], v169 offset:6200
	;; [unrolled: 1-line block ×3, first 2 shown]
.LBB0_27:
	s_or_b32 exec_lo, exec_lo, s1
	s_waitcnt lgkmcnt(6)
	v_mul_f32_e32 v40, v77, v2
	v_mul_f32_e32 v39, v77, v3
	s_waitcnt lgkmcnt(5)
	v_mul_f32_e32 v41, v79, v25
	v_mul_f32_e32 v42, v79, v24
	s_waitcnt lgkmcnt(1)
	v_mul_f32_e32 v45, v73, v15
	v_fma_f32 v3, v76, v3, -v40
	v_mul_f32_e32 v40, v65, v21
	v_fmac_f32_e32 v39, v76, v2
	v_mul_f32_e32 v2, v65, v20
	v_fmac_f32_e32 v41, v78, v24
	v_fma_f32 v24, v78, v25, -v42
	v_fmac_f32_e32 v40, v64, v20
	v_mul_f32_e32 v20, v67, v26
	v_mul_f32_e32 v25, v67, v27
	v_fma_f32 v21, v64, v21, -v2
	v_mul_f32_e32 v2, v81, v22
	v_mul_f32_e32 v42, v81, v23
	v_fma_f32 v20, v66, v27, -v20
	v_mul_f32_e32 v27, v69, v13
	s_waitcnt lgkmcnt(0)
	v_mul_f32_e32 v47, v75, v35
	v_fma_f32 v23, v80, v23, -v2
	v_mul_f32_e32 v2, v69, v12
	v_fmac_f32_e32 v25, v66, v26
	v_fmac_f32_e32 v27, v68, v12
	v_mul_f32_e32 v12, v71, v18
	v_fmac_f32_e32 v45, v72, v14
	v_fma_f32 v44, v68, v13, -v2
	v_mul_f32_e32 v2, v73, v14
	v_add_f32_e32 v13, v4, v39
	v_fma_f32 v46, v70, v19, -v12
	v_mul_f32_e32 v12, v75, v34
	v_sub_f32_e32 v14, v3, v24
	v_fma_f32 v48, v72, v15, -v2
	v_add_f32_e32 v2, v39, v41
	v_sub_f32_e32 v15, v39, v41
	v_fma_f32 v35, v74, v35, -v12
	v_add_f32_e32 v12, v3, v24
	v_mul_f32_e32 v26, v83, v17
	v_fma_f32 v2, -0.5, v2, v4
	v_add_f32_e32 v4, v13, v41
	v_add_f32_e32 v13, v5, v3
	v_fma_f32 v3, -0.5, v12, v5
	v_fmac_f32_e32 v42, v80, v22
	v_mul_f32_e32 v22, v83, v16
	v_mul_f32_e32 v43, v71, v19
	v_fmamk_f32 v12, v14, 0xbf5db3d7, v2
	v_fmac_f32_e32 v2, 0x3f5db3d7, v14
	v_add_f32_e32 v5, v13, v24
	v_add_f32_e32 v14, v40, v25
	v_fmamk_f32 v13, v15, 0x3f5db3d7, v3
	v_fmac_f32_e32 v3, 0xbf5db3d7, v15
	v_add_f32_e32 v15, v21, v20
	v_fmac_f32_e32 v26, v82, v16
	v_fma_f32 v22, v82, v17, -v22
	v_fmac_f32_e32 v43, v70, v18
	v_add_f32_e32 v16, v6, v40
	v_fma_f32 v6, -0.5, v14, v6
	v_sub_f32_e32 v17, v21, v20
	v_add_f32_e32 v18, v7, v21
	v_fmac_f32_e32 v7, -0.5, v15
	v_sub_f32_e32 v19, v40, v25
	v_add_f32_e32 v14, v16, v25
	v_fmamk_f32 v16, v17, 0xbf5db3d7, v6
	v_fmac_f32_e32 v6, 0x3f5db3d7, v17
	v_add_f32_e32 v15, v18, v20
	v_add_f32_e32 v18, v42, v26
	v_fmamk_f32 v17, v19, 0x3f5db3d7, v7
	v_fmac_f32_e32 v7, 0xbf5db3d7, v19
	v_add_f32_e32 v19, v23, v22
	v_add_f32_e32 v20, v8, v42
	v_fma_f32 v8, -0.5, v18, v8
	v_sub_f32_e32 v21, v23, v22
	v_add_f32_e32 v23, v9, v23
	v_fma_f32 v9, -0.5, v19, v9
	v_sub_f32_e32 v24, v42, v26
	v_add_f32_e32 v18, v20, v26
	v_fmamk_f32 v20, v21, 0xbf5db3d7, v8
	v_fmac_f32_e32 v8, 0x3f5db3d7, v21
	v_add_f32_e32 v19, v23, v22
	v_add_f32_e32 v22, v27, v43
	v_fmamk_f32 v21, v24, 0x3f5db3d7, v9
	v_add_f32_e32 v23, v10, v27
	v_fmac_f32_e32 v9, 0xbf5db3d7, v24
	v_add_f32_e32 v24, v44, v46
	v_fmac_f32_e32 v47, v74, v34
	v_fma_f32 v10, -0.5, v22, v10
	v_sub_f32_e32 v25, v44, v46
	v_add_f32_e32 v22, v23, v43
	v_add_f32_e32 v23, v11, v44
	v_fmac_f32_e32 v11, -0.5, v24
	v_sub_f32_e32 v26, v27, v43
	v_fmamk_f32 v24, v25, 0xbf5db3d7, v10
	v_fmac_f32_e32 v10, 0x3f5db3d7, v25
	v_add_f32_e32 v27, v45, v47
	v_add_f32_e32 v34, v0, v45
	v_fmamk_f32 v25, v26, 0x3f5db3d7, v11
	v_fmac_f32_e32 v11, 0xbf5db3d7, v26
	v_add_f32_e32 v26, v48, v35
	v_fma_f32 v0, -0.5, v27, v0
	v_sub_f32_e32 v27, v48, v35
	v_add_f32_e32 v39, v1, v48
	v_sub_f32_e32 v40, v45, v47
	v_fmac_f32_e32 v1, -0.5, v26
	v_add_f32_e32 v23, v23, v46
	v_add_f32_e32 v26, v34, v47
	v_fmamk_f32 v34, v27, 0xbf5db3d7, v0
	v_fmac_f32_e32 v0, 0x3f5db3d7, v27
	v_add_f32_e32 v27, v39, v35
	v_fmamk_f32 v35, v40, 0x3f5db3d7, v1
	v_fmac_f32_e32 v1, 0xbf5db3d7, v40
	ds_write_b64 v169, v[4:5]
	ds_write_b64 v172, v[12:13] offset:3200
	ds_write_b64 v172, v[2:3] offset:6400
	;; [unrolled: 1-line block ×14, first 2 shown]
	s_and_saveexec_b32 s1, s0
	s_cbranch_execz .LBB0_29
; %bb.28:
	v_mul_f32_e32 v0, v61, v28
	v_mul_f32_e32 v1, v63, v30
	;; [unrolled: 1-line block ×4, first 2 shown]
	v_fma_f32 v0, v60, v29, -v0
	v_fma_f32 v3, v62, v31, -v1
	v_fmac_f32_e32 v2, v60, v28
	v_fmac_f32_e32 v4, v62, v30
	v_add_f32_e32 v7, v33, v0
	v_add_f32_e32 v1, v0, v3
	v_sub_f32_e32 v8, v0, v3
	v_add_f32_e32 v5, v2, v4
	v_sub_f32_e32 v6, v2, v4
	v_add_f32_e32 v2, v32, v2
	v_fma_f32 v1, -0.5, v1, v33
	v_add_f32_e32 v3, v7, v3
	v_fma_f32 v0, -0.5, v5, v32
	v_add_f32_e32 v2, v2, v4
	v_fmamk_f32 v5, v6, 0xbf5db3d7, v1
	v_fmac_f32_e32 v1, 0x3f5db3d7, v6
	v_fmamk_f32 v4, v8, 0x3f5db3d7, v0
	v_fmac_f32_e32 v0, 0xbf5db3d7, v8
	ds_write_b64 v169, v[2:3] offset:3000
	ds_write_b64 v169, v[0:1] offset:6200
	;; [unrolled: 1-line block ×3, first 2 shown]
.LBB0_29:
	s_or_b32 exec_lo, exec_lo, s1
	s_waitcnt lgkmcnt(0)
	s_barrier
	buffer_gl0_inv
	ds_read2_b64 v[0:3], v169 offset1:75
	ds_read2_b64 v[4:7], v169 offset0:150 offset1:240
	v_add_nc_u32_e32 v8, 0xc00, v169
	v_add_nc_u32_e32 v12, 0x1000, v169
	v_mad_u64_u32 v[22:23], null, s8, v170, 0
	ds_read2_b64 v[8:11], v8 offset0:96 offset1:171
	ds_read2_b64 v[12:15], v12 offset0:118 offset1:208
	v_add_nc_u32_e32 v16, 0x1c00, v169
	v_mad_u64_u32 v[20:21], null, s10, v142, 0
	s_mov_b32 s2, 0xb4e81b4f
	s_mov_b32 s3, 0x3f4b4e81
	ds_read2_b64 v[16:19], v16 offset0:64 offset1:139
	v_add_nc_u32_e32 v36, 0x800, v169
	s_mul_hi_u32 s1, s8, 0xf0
	v_mad_u64_u32 v[27:28], null, s11, v142, v[21:22]
	s_waitcnt lgkmcnt(4)
	v_mul_f32_e32 v24, v144, v1
	v_mul_f32_e32 v25, v144, v0
	s_waitcnt lgkmcnt(3)
	v_mul_f32_e32 v29, v156, v7
	v_mul_f32_e32 v30, v156, v6
	;; [unrolled: 1-line block ×3, first 2 shown]
	v_fmac_f32_e32 v24, v143, v0
	v_fma_f32 v1, v143, v1, -v25
	v_mov_b32_e32 v0, v23
	v_fmac_f32_e32 v29, v155, v6
	s_waitcnt lgkmcnt(2)
	v_mul_f32_e32 v21, v162, v9
	v_cvt_f64_f32_e32 v[23:24], v24
	v_cvt_f64_f32_e32 v[25:26], v1
	v_mad_u64_u32 v[0:1], null, s9, v170, v[0:1]
	v_fma_f32 v1, v155, v7, -v30
	v_mul_f32_e32 v30, v162, v8
	s_waitcnt lgkmcnt(1)
	v_mul_f32_e32 v31, v164, v15
	v_mul_f32_e32 v32, v164, v14
	v_cvt_f64_f32_e32 v[6:7], v29
	v_cvt_f64_f32_e32 v[28:29], v1
	v_fmac_f32_e32 v21, v161, v8
	v_fma_f32 v1, v161, v9, -v30
	v_fmac_f32_e32 v31, v163, v14
	v_fma_f32 v35, v163, v15, -v32
	s_waitcnt lgkmcnt(0)
	v_mul_f32_e32 v34, v160, v17
	v_cvt_f64_f32_e32 v[8:9], v21
	v_cvt_f64_f32_e32 v[14:15], v1
	;; [unrolled: 1-line block ×3, first 2 shown]
	v_mov_b32_e32 v21, v27
	v_fmac_f32_e32 v34, v159, v16
	v_fmac_f32_e32 v37, v149, v2
	v_mul_f32_e32 v2, v150, v2
	v_mul_f64 v[32:33], v[23:24], s[2:3]
	v_mul_f64 v[24:25], v[25:26], s[2:3]
	v_mul_f32_e32 v26, v160, v16
	v_mov_b32_e32 v23, v0
	v_cvt_f64_f32_e32 v[0:1], v35
	v_lshlrev_b64 v[20:21], 3, v[20:21]
	v_fma_f32 v35, v159, v17, -v26
	v_cvt_f64_f32_e32 v[16:17], v34
	v_mul_f64 v[26:27], v[6:7], s[2:3]
	v_lshlrev_b64 v[6:7], 3, v[22:23]
	v_add_co_u32 v38, s0, s6, v20
	v_cvt_f64_f32_e32 v[34:35], v35
	v_add_co_ci_u32_e64 v39, s0, s7, v21, s0
	v_mul_f64 v[22:23], v[28:29], s[2:3]
	v_mul_f64 v[20:21], v[8:9], s[2:3]
	;; [unrolled: 1-line block ×4, first 2 shown]
	v_cvt_f32_f64_e32 v30, v[32:33]
	v_cvt_f32_f64_e32 v31, v[24:25]
	v_add_co_u32 v24, s0, v38, v6
	v_mul_f64 v[0:1], v[0:1], s[2:3]
	v_add_co_ci_u32_e64 v25, s0, v39, v7, s0
	ds_read2_b64 v[6:9], v36 offset0:59 offset1:134
	v_mul_f64 v[16:17], v[16:17], s[2:3]
	v_cvt_f32_f64_e32 v26, v[26:27]
	s_mul_i32 s0, s9, 0xf0
	s_add_i32 s1, s1, s0
	v_mul_f64 v[32:33], v[34:35], s[2:3]
	v_cvt_f64_f32_e32 v[34:35], v37
	s_mul_i32 s0, s8, 0xf0
	v_cvt_f32_f64_e32 v27, v[22:23]
	v_cvt_f32_f64_e32 v20, v[20:21]
	;; [unrolled: 1-line block ×4, first 2 shown]
	s_lshl_b64 s[4:5], s[0:1], 3
	s_mul_hi_u32 s1, s8, 0xfffffc8b
	v_add_co_u32 v22, s0, v24, s4
	v_add_co_ci_u32_e64 v23, s0, s5, v25, s0
	v_cvt_f32_f64_e32 v15, v[0:1]
	s_waitcnt lgkmcnt(0)
	v_mul_f32_e32 v36, v158, v7
	v_mul_f32_e32 v28, v158, v6
	v_fma_f32 v0, v149, v3, -v2
	v_cvt_f32_f64_e32 v16, v[16:17]
	global_store_dwordx2 v[24:25], v[30:31], off
	v_fmac_f32_e32 v36, v157, v6
	v_fma_f32 v1, v157, v7, -v28
	v_cvt_f64_f32_e32 v[6:7], v0
	v_add_nc_u32_e32 v0, 0x1800, v169
	v_mul_f64 v[28:29], v[34:35], s[2:3]
	v_cvt_f32_f64_e32 v17, v[32:33]
	v_cvt_f64_f32_e32 v[34:35], v1
	v_cvt_f64_f32_e32 v[32:33], v36
	ds_read2_b64 v[0:3], v0 offset0:27 offset1:102
	v_add_co_u32 v36, s0, v22, s4
	v_add_co_ci_u32_e64 v37, s0, s5, v23, s0
	s_sub_i32 s1, s1, s8
	v_add_co_u32 v38, s0, v36, s4
	v_add_co_ci_u32_e64 v39, s0, s5, v37, s0
	global_store_dwordx2 v[22:23], v[26:27], off
	global_store_dwordx2 v[36:37], v[20:21], off
	;; [unrolled: 1-line block ×3, first 2 shown]
	v_mul_f32_e32 v15, v152, v11
	v_mul_f32_e32 v22, v152, v10
	v_add_co_u32 v24, s0, v38, s4
	v_mul_f64 v[6:7], v[6:7], s[2:3]
	v_fmac_f32_e32 v15, v151, v10
	v_fma_f32 v22, v151, v11, -v22
	v_add_co_ci_u32_e64 v25, s0, s5, v39, s0
	s_waitcnt lgkmcnt(0)
	v_mul_f32_e32 v23, v154, v1
	v_mul_f32_e32 v26, v154, v0
	v_cvt_f64_f32_e32 v[10:11], v15
	s_mul_i32 s0, s9, 0xfffffc8b
	global_store_dwordx2 v[24:25], v[16:17], off
	v_fmac_f32_e32 v23, v153, v0
	v_fma_f32 v15, v153, v1, -v26
	v_cvt_f64_f32_e32 v[0:1], v22
	s_add_i32 s1, s1, s0
	s_mul_i32 s0, s8, 0xfffffc8b
	v_cvt_f64_f32_e32 v[22:23], v23
	v_cvt_f64_f32_e32 v[26:27], v15
	s_lshl_b64 s[6:7], s[0:1], 3
	v_mul_f64 v[16:17], v[32:33], s[2:3]
	v_mul_f64 v[20:21], v[34:35], s[2:3]
	v_cvt_f32_f64_e32 v14, v[28:29]
	v_mul_f32_e32 v30, v135, v5
	v_cvt_f32_f64_e32 v15, v[6:7]
	v_add_co_u32 v6, s0, v24, s6
	v_add_co_ci_u32_e64 v7, s0, s7, v25, s0
	v_mul_f32_e32 v24, v146, v19
	v_mul_f32_e32 v25, v146, v18
	;; [unrolled: 1-line block ×4, first 2 shown]
	v_mul_f64 v[10:11], v[10:11], s[2:3]
	v_fmac_f32_e32 v24, v145, v18
	v_fma_f32 v28, v145, v19, -v25
	v_mul_f64 v[0:1], v[0:1], s[2:3]
	v_mul_f32_e32 v32, v137, v9
	v_mul_f32_e32 v33, v137, v8
	v_mul_f64 v[18:19], v[22:23], s[2:3]
	v_mul_f64 v[22:23], v[26:27], s[2:3]
	ds_read_b64 v[26:27], v169 offset:8880
	v_cvt_f64_f32_e32 v[24:25], v24
	v_cvt_f64_f32_e32 v[28:29], v28
	v_fmac_f32_e32 v30, v134, v4
	v_fma_f32 v31, v134, v5, -v31
	v_cvt_f32_f64_e32 v16, v[16:17]
	v_cvt_f32_f64_e32 v17, v[20:21]
	v_fmac_f32_e32 v34, v140, v12
	v_mul_f32_e32 v12, v141, v12
	v_mul_f32_e32 v36, v139, v3
	;; [unrolled: 1-line block ×3, first 2 shown]
	v_fmac_f32_e32 v32, v136, v8
	v_fma_f32 v33, v136, v9, -v33
	v_cvt_f64_f32_e32 v[4:5], v30
	v_cvt_f64_f32_e32 v[8:9], v31
	v_fma_f32 v12, v140, v13, -v12
	v_fmac_f32_e32 v36, v138, v2
	v_fma_f32 v37, v138, v3, -v37
	v_cvt_f64_f32_e32 v[30:31], v32
	v_cvt_f64_f32_e32 v[32:33], v33
	s_waitcnt lgkmcnt(0)
	v_mul_f32_e32 v38, v148, v27
	v_mul_f32_e32 v39, v148, v26
	v_cvt_f64_f32_e32 v[34:35], v34
	v_cvt_f64_f32_e32 v[2:3], v12
	;; [unrolled: 1-line block ×3, first 2 shown]
	v_fmac_f32_e32 v38, v147, v26
	v_fma_f32 v39, v147, v27, -v39
	v_cvt_f64_f32_e32 v[26:27], v37
	v_add_co_u32 v20, s0, v6, s4
	v_cvt_f64_f32_e32 v[36:37], v38
	v_cvt_f64_f32_e32 v[38:39], v39
	v_add_co_ci_u32_e64 v21, s0, s5, v7, s0
	global_store_dwordx2 v[6:7], v[14:15], off
	global_store_dwordx2 v[20:21], v[16:17], off
	v_cvt_f32_f64_e32 v6, v[10:11]
	v_cvt_f32_f64_e32 v7, v[0:1]
	v_mul_f64 v[0:1], v[24:25], s[2:3]
	v_mul_f64 v[10:11], v[28:29], s[2:3]
	;; [unrolled: 1-line block ×4, first 2 shown]
	v_add_co_u32 v14, s0, v20, s4
	v_add_co_ci_u32_e64 v15, s0, s5, v21, s0
	v_cvt_f32_f64_e32 v16, v[18:19]
	v_cvt_f32_f64_e32 v17, v[22:23]
	v_mul_f64 v[18:19], v[30:31], s[2:3]
	v_mul_f64 v[20:21], v[32:33], s[2:3]
	;; [unrolled: 1-line block ×8, first 2 shown]
	v_add_co_u32 v30, s0, v14, s4
	v_add_co_ci_u32_e64 v31, s0, s5, v15, s0
	v_cvt_f32_f64_e32 v0, v[0:1]
	v_cvt_f32_f64_e32 v1, v[10:11]
	v_add_co_u32 v10, s0, v30, s4
	v_add_co_ci_u32_e64 v11, s0, s5, v31, s0
	v_cvt_f32_f64_e32 v4, v[4:5]
	v_cvt_f32_f64_e32 v5, v[8:9]
	;; [unrolled: 4-line block ×3, first 2 shown]
	v_cvt_f32_f64_e32 v20, v[22:23]
	v_add_co_u32 v22, s0, v8, s4
	v_cvt_f32_f64_e32 v21, v[2:3]
	v_add_co_ci_u32_e64 v23, s0, s5, v9, s0
	v_cvt_f32_f64_e32 v2, v[12:13]
	v_cvt_f32_f64_e32 v3, v[24:25]
	;; [unrolled: 1-line block ×4, first 2 shown]
	global_store_dwordx2 v[14:15], v[6:7], off
	v_add_co_u32 v6, s0, v22, s4
	v_add_co_ci_u32_e64 v7, s0, s5, v23, s0
	global_store_dwordx2 v[30:31], v[16:17], off
	v_add_co_u32 v14, s0, v6, s4
	v_add_co_ci_u32_e64 v15, s0, s5, v7, s0
	;; [unrolled: 3-line block ×3, first 2 shown]
	global_store_dwordx2 v[8:9], v[4:5], off
	global_store_dwordx2 v[22:23], v[18:19], off
	;; [unrolled: 1-line block ×5, first 2 shown]
	s_and_b32 exec_lo, exec_lo, vcc_lo
	s_cbranch_execz .LBB0_31
; %bb.30:
	global_load_dwordx2 v[2:3], v[124:125], off offset:1800
	ds_read_b64 v[4:5], v172 offset:1800
	s_waitcnt vmcnt(0) lgkmcnt(0)
	v_mul_f32_e32 v6, v5, v3
	v_mul_f32_e32 v3, v4, v3
	v_fmac_f32_e32 v6, v4, v2
	v_fma_f32 v4, v2, v5, -v3
	v_cvt_f64_f32_e32 v[2:3], v6
	v_cvt_f64_f32_e32 v[4:5], v4
	v_mul_f64 v[2:3], v[2:3], s[2:3]
	v_mul_f64 v[4:5], v[4:5], s[2:3]
	v_cvt_f32_f64_e32 v2, v[2:3]
	v_cvt_f32_f64_e32 v3, v[4:5]
	v_add_co_u32 v4, vcc_lo, v0, s6
	v_add_co_ci_u32_e32 v5, vcc_lo, s7, v1, vcc_lo
	v_add_nc_u32_e32 v0, 0xe80, v169
	global_store_dwordx2 v[4:5], v[2:3], off
	global_load_dwordx2 v[6:7], v[132:133], off offset:1672
	ds_read2_b64 v[0:3], v0 offset0:1 offset1:241
	v_add_co_u32 v4, vcc_lo, v4, s4
	v_add_co_ci_u32_e32 v5, vcc_lo, s5, v5, vcc_lo
	s_waitcnt vmcnt(0) lgkmcnt(0)
	v_mul_f32_e32 v8, v1, v7
	v_mul_f32_e32 v7, v0, v7
	v_fmac_f32_e32 v8, v0, v6
	v_fma_f32 v6, v6, v1, -v7
	v_cvt_f64_f32_e32 v[0:1], v8
	v_cvt_f64_f32_e32 v[6:7], v6
	v_mul_f64 v[0:1], v[0:1], s[2:3]
	v_mul_f64 v[6:7], v[6:7], s[2:3]
	v_cvt_f32_f64_e32 v0, v[0:1]
	v_cvt_f32_f64_e32 v1, v[6:7]
	global_store_dwordx2 v[4:5], v[0:1], off
	global_load_dwordx2 v[0:1], v[130:131], off offset:1544
	v_add_co_u32 v4, vcc_lo, v4, s4
	v_add_co_ci_u32_e32 v5, vcc_lo, s5, v5, vcc_lo
	s_waitcnt vmcnt(0)
	v_mul_f32_e32 v6, v3, v1
	v_mul_f32_e32 v1, v2, v1
	v_fmac_f32_e32 v6, v2, v0
	v_fma_f32 v2, v0, v3, -v1
	v_cvt_f64_f32_e32 v[0:1], v6
	v_cvt_f64_f32_e32 v[2:3], v2
	v_mul_f64 v[0:1], v[0:1], s[2:3]
	v_mul_f64 v[2:3], v[2:3], s[2:3]
	v_cvt_f32_f64_e32 v0, v[0:1]
	v_cvt_f32_f64_e32 v1, v[2:3]
	global_store_dwordx2 v[4:5], v[0:1], off
	global_load_dwordx2 v[6:7], v[128:129], off offset:1416
	v_add_nc_u32_e32 v0, 0x1d80, v169
	v_add_co_u32 v4, vcc_lo, v4, s4
	v_add_co_ci_u32_e32 v5, vcc_lo, s5, v5, vcc_lo
	ds_read2_b64 v[0:3], v0 offset0:1 offset1:241
	s_waitcnt vmcnt(0) lgkmcnt(0)
	v_mul_f32_e32 v8, v1, v7
	v_mul_f32_e32 v7, v0, v7
	v_fmac_f32_e32 v8, v0, v6
	v_fma_f32 v6, v6, v1, -v7
	v_cvt_f64_f32_e32 v[0:1], v8
	v_cvt_f64_f32_e32 v[6:7], v6
	v_mul_f64 v[0:1], v[0:1], s[2:3]
	v_mul_f64 v[6:7], v[6:7], s[2:3]
	v_cvt_f32_f64_e32 v0, v[0:1]
	v_cvt_f32_f64_e32 v1, v[6:7]
	global_store_dwordx2 v[4:5], v[0:1], off
	global_load_dwordx2 v[0:1], v[126:127], off offset:1288
	s_waitcnt vmcnt(0)
	v_mul_f32_e32 v6, v3, v1
	v_mul_f32_e32 v1, v2, v1
	v_fmac_f32_e32 v6, v2, v0
	v_fma_f32 v2, v0, v3, -v1
	v_cvt_f64_f32_e32 v[0:1], v6
	v_cvt_f64_f32_e32 v[2:3], v2
	v_mul_f64 v[0:1], v[0:1], s[2:3]
	v_mul_f64 v[2:3], v[2:3], s[2:3]
	v_cvt_f32_f64_e32 v0, v[0:1]
	v_cvt_f32_f64_e32 v1, v[2:3]
	v_add_co_u32 v2, vcc_lo, v4, s4
	v_add_co_ci_u32_e32 v3, vcc_lo, s5, v5, vcc_lo
	global_store_dwordx2 v[2:3], v[0:1], off
.LBB0_31:
	s_endpgm
	.section	.rodata,"a",@progbits
	.p2align	6, 0x0
	.amdhsa_kernel bluestein_single_fwd_len1200_dim1_sp_op_CI_CI
		.amdhsa_group_segment_fixed_size 28800
		.amdhsa_private_segment_fixed_size 0
		.amdhsa_kernarg_size 104
		.amdhsa_user_sgpr_count 6
		.amdhsa_user_sgpr_private_segment_buffer 1
		.amdhsa_user_sgpr_dispatch_ptr 0
		.amdhsa_user_sgpr_queue_ptr 0
		.amdhsa_user_sgpr_kernarg_segment_ptr 1
		.amdhsa_user_sgpr_dispatch_id 0
		.amdhsa_user_sgpr_flat_scratch_init 0
		.amdhsa_user_sgpr_private_segment_size 0
		.amdhsa_wavefront_size32 1
		.amdhsa_uses_dynamic_stack 0
		.amdhsa_system_sgpr_private_segment_wavefront_offset 0
		.amdhsa_system_sgpr_workgroup_id_x 1
		.amdhsa_system_sgpr_workgroup_id_y 0
		.amdhsa_system_sgpr_workgroup_id_z 0
		.amdhsa_system_sgpr_workgroup_info 0
		.amdhsa_system_vgpr_workitem_id 0
		.amdhsa_next_free_vgpr 230
		.amdhsa_next_free_sgpr 16
		.amdhsa_reserve_vcc 1
		.amdhsa_reserve_flat_scratch 0
		.amdhsa_float_round_mode_32 0
		.amdhsa_float_round_mode_16_64 0
		.amdhsa_float_denorm_mode_32 3
		.amdhsa_float_denorm_mode_16_64 3
		.amdhsa_dx10_clamp 1
		.amdhsa_ieee_mode 1
		.amdhsa_fp16_overflow 0
		.amdhsa_workgroup_processor_mode 1
		.amdhsa_memory_ordered 1
		.amdhsa_forward_progress 0
		.amdhsa_shared_vgpr_count 0
		.amdhsa_exception_fp_ieee_invalid_op 0
		.amdhsa_exception_fp_denorm_src 0
		.amdhsa_exception_fp_ieee_div_zero 0
		.amdhsa_exception_fp_ieee_overflow 0
		.amdhsa_exception_fp_ieee_underflow 0
		.amdhsa_exception_fp_ieee_inexact 0
		.amdhsa_exception_int_div_zero 0
	.end_amdhsa_kernel
	.text
.Lfunc_end0:
	.size	bluestein_single_fwd_len1200_dim1_sp_op_CI_CI, .Lfunc_end0-bluestein_single_fwd_len1200_dim1_sp_op_CI_CI
                                        ; -- End function
	.section	.AMDGPU.csdata,"",@progbits
; Kernel info:
; codeLenInByte = 18040
; NumSgprs: 18
; NumVgprs: 230
; ScratchSize: 0
; MemoryBound: 0
; FloatMode: 240
; IeeeMode: 1
; LDSByteSize: 28800 bytes/workgroup (compile time only)
; SGPRBlocks: 2
; VGPRBlocks: 28
; NumSGPRsForWavesPerEU: 18
; NumVGPRsForWavesPerEU: 230
; Occupancy: 4
; WaveLimiterHint : 1
; COMPUTE_PGM_RSRC2:SCRATCH_EN: 0
; COMPUTE_PGM_RSRC2:USER_SGPR: 6
; COMPUTE_PGM_RSRC2:TRAP_HANDLER: 0
; COMPUTE_PGM_RSRC2:TGID_X_EN: 1
; COMPUTE_PGM_RSRC2:TGID_Y_EN: 0
; COMPUTE_PGM_RSRC2:TGID_Z_EN: 0
; COMPUTE_PGM_RSRC2:TIDIG_COMP_CNT: 0
	.text
	.p2alignl 6, 3214868480
	.fill 48, 4, 3214868480
	.type	__hip_cuid_ab30ae8f784a36e0,@object ; @__hip_cuid_ab30ae8f784a36e0
	.section	.bss,"aw",@nobits
	.globl	__hip_cuid_ab30ae8f784a36e0
__hip_cuid_ab30ae8f784a36e0:
	.byte	0                               ; 0x0
	.size	__hip_cuid_ab30ae8f784a36e0, 1

	.ident	"AMD clang version 19.0.0git (https://github.com/RadeonOpenCompute/llvm-project roc-6.4.0 25133 c7fe45cf4b819c5991fe208aaa96edf142730f1d)"
	.section	".note.GNU-stack","",@progbits
	.addrsig
	.addrsig_sym __hip_cuid_ab30ae8f784a36e0
	.amdgpu_metadata
---
amdhsa.kernels:
  - .args:
      - .actual_access:  read_only
        .address_space:  global
        .offset:         0
        .size:           8
        .value_kind:     global_buffer
      - .actual_access:  read_only
        .address_space:  global
        .offset:         8
        .size:           8
        .value_kind:     global_buffer
      - .actual_access:  read_only
        .address_space:  global
        .offset:         16
        .size:           8
        .value_kind:     global_buffer
      - .actual_access:  read_only
        .address_space:  global
        .offset:         24
        .size:           8
        .value_kind:     global_buffer
      - .actual_access:  read_only
        .address_space:  global
        .offset:         32
        .size:           8
        .value_kind:     global_buffer
      - .offset:         40
        .size:           8
        .value_kind:     by_value
      - .address_space:  global
        .offset:         48
        .size:           8
        .value_kind:     global_buffer
      - .address_space:  global
        .offset:         56
        .size:           8
        .value_kind:     global_buffer
      - .address_space:  global
        .offset:         64
        .size:           8
        .value_kind:     global_buffer
      - .address_space:  global
        .offset:         72
        .size:           8
        .value_kind:     global_buffer
      - .offset:         80
        .size:           4
        .value_kind:     by_value
      - .address_space:  global
        .offset:         88
        .size:           8
        .value_kind:     global_buffer
      - .address_space:  global
        .offset:         96
        .size:           8
        .value_kind:     global_buffer
    .group_segment_fixed_size: 28800
    .kernarg_segment_align: 8
    .kernarg_segment_size: 104
    .language:       OpenCL C
    .language_version:
      - 2
      - 0
    .max_flat_workgroup_size: 225
    .name:           bluestein_single_fwd_len1200_dim1_sp_op_CI_CI
    .private_segment_fixed_size: 0
    .sgpr_count:     18
    .sgpr_spill_count: 0
    .symbol:         bluestein_single_fwd_len1200_dim1_sp_op_CI_CI.kd
    .uniform_work_group_size: 1
    .uses_dynamic_stack: false
    .vgpr_count:     230
    .vgpr_spill_count: 0
    .wavefront_size: 32
    .workgroup_processor_mode: 1
amdhsa.target:   amdgcn-amd-amdhsa--gfx1030
amdhsa.version:
  - 1
  - 2
...

	.end_amdgpu_metadata
